;; amdgpu-corpus repo=ROCm/rocFFT kind=compiled arch=gfx906 opt=O3
	.text
	.amdgcn_target "amdgcn-amd-amdhsa--gfx906"
	.amdhsa_code_object_version 6
	.protected	fft_rtc_back_len1734_factors_17_17_6_wgs_102_tpt_102_halfLds_dp_ip_CI_sbrr_dirReg ; -- Begin function fft_rtc_back_len1734_factors_17_17_6_wgs_102_tpt_102_halfLds_dp_ip_CI_sbrr_dirReg
	.globl	fft_rtc_back_len1734_factors_17_17_6_wgs_102_tpt_102_halfLds_dp_ip_CI_sbrr_dirReg
	.p2align	8
	.type	fft_rtc_back_len1734_factors_17_17_6_wgs_102_tpt_102_halfLds_dp_ip_CI_sbrr_dirReg,@function
fft_rtc_back_len1734_factors_17_17_6_wgs_102_tpt_102_halfLds_dp_ip_CI_sbrr_dirReg: ; @fft_rtc_back_len1734_factors_17_17_6_wgs_102_tpt_102_halfLds_dp_ip_CI_sbrr_dirReg
; %bb.0:
	s_load_dwordx2 s[2:3], s[4:5], 0x18
	s_load_dwordx4 s[8:11], s[4:5], 0x0
	s_load_dwordx2 s[14:15], s[4:5], 0x50
	v_mul_u32_u24_e32 v1, 0x283, v0
	v_add_u32_sdwa v5, s6, v1 dst_sel:DWORD dst_unused:UNUSED_PAD src0_sel:DWORD src1_sel:WORD_1
	s_waitcnt lgkmcnt(0)
	s_load_dwordx2 s[12:13], s[2:3], 0x0
	v_cmp_lt_u64_e64 s[0:1], s[10:11], 2
	v_mov_b32_e32 v3, 0
	v_mov_b32_e32 v1, 0
	;; [unrolled: 1-line block ×3, first 2 shown]
	s_and_b64 vcc, exec, s[0:1]
	v_mov_b32_e32 v2, 0
	s_cbranch_vccnz .LBB0_8
; %bb.1:
	s_load_dwordx2 s[0:1], s[4:5], 0x10
	s_add_u32 s6, s2, 8
	s_addc_u32 s7, s3, 0
	v_mov_b32_e32 v1, 0
	v_mov_b32_e32 v2, 0
	s_waitcnt lgkmcnt(0)
	s_add_u32 s16, s0, 8
	s_addc_u32 s17, s1, 0
	s_mov_b64 s[18:19], 1
.LBB0_2:                                ; =>This Inner Loop Header: Depth=1
	s_load_dwordx2 s[20:21], s[16:17], 0x0
                                        ; implicit-def: $vgpr7_vgpr8
	s_waitcnt lgkmcnt(0)
	v_or_b32_e32 v4, s21, v6
	v_cmp_ne_u64_e32 vcc, 0, v[3:4]
	s_and_saveexec_b64 s[0:1], vcc
	s_xor_b64 s[22:23], exec, s[0:1]
	s_cbranch_execz .LBB0_4
; %bb.3:                                ;   in Loop: Header=BB0_2 Depth=1
	v_cvt_f32_u32_e32 v4, s20
	v_cvt_f32_u32_e32 v7, s21
	s_sub_u32 s0, 0, s20
	s_subb_u32 s1, 0, s21
	v_mac_f32_e32 v4, 0x4f800000, v7
	v_rcp_f32_e32 v4, v4
	v_mul_f32_e32 v4, 0x5f7ffffc, v4
	v_mul_f32_e32 v7, 0x2f800000, v4
	v_trunc_f32_e32 v7, v7
	v_mac_f32_e32 v4, 0xcf800000, v7
	v_cvt_u32_f32_e32 v7, v7
	v_cvt_u32_f32_e32 v4, v4
	v_mul_lo_u32 v8, s0, v7
	v_mul_hi_u32 v9, s0, v4
	v_mul_lo_u32 v11, s1, v4
	v_mul_lo_u32 v10, s0, v4
	v_add_u32_e32 v8, v9, v8
	v_add_u32_e32 v8, v8, v11
	v_mul_hi_u32 v9, v4, v10
	v_mul_lo_u32 v11, v4, v8
	v_mul_hi_u32 v13, v4, v8
	v_mul_hi_u32 v12, v7, v10
	v_mul_lo_u32 v10, v7, v10
	v_mul_hi_u32 v14, v7, v8
	v_add_co_u32_e32 v9, vcc, v9, v11
	v_addc_co_u32_e32 v11, vcc, 0, v13, vcc
	v_mul_lo_u32 v8, v7, v8
	v_add_co_u32_e32 v9, vcc, v9, v10
	v_addc_co_u32_e32 v9, vcc, v11, v12, vcc
	v_addc_co_u32_e32 v10, vcc, 0, v14, vcc
	v_add_co_u32_e32 v8, vcc, v9, v8
	v_addc_co_u32_e32 v9, vcc, 0, v10, vcc
	v_add_co_u32_e32 v4, vcc, v4, v8
	v_addc_co_u32_e32 v7, vcc, v7, v9, vcc
	v_mul_lo_u32 v8, s0, v7
	v_mul_hi_u32 v9, s0, v4
	v_mul_lo_u32 v10, s1, v4
	v_mul_lo_u32 v11, s0, v4
	v_add_u32_e32 v8, v9, v8
	v_add_u32_e32 v8, v8, v10
	v_mul_lo_u32 v12, v4, v8
	v_mul_hi_u32 v13, v4, v11
	v_mul_hi_u32 v14, v4, v8
	;; [unrolled: 1-line block ×3, first 2 shown]
	v_mul_lo_u32 v11, v7, v11
	v_mul_hi_u32 v9, v7, v8
	v_add_co_u32_e32 v12, vcc, v13, v12
	v_addc_co_u32_e32 v13, vcc, 0, v14, vcc
	v_mul_lo_u32 v8, v7, v8
	v_add_co_u32_e32 v11, vcc, v12, v11
	v_addc_co_u32_e32 v10, vcc, v13, v10, vcc
	v_addc_co_u32_e32 v9, vcc, 0, v9, vcc
	v_add_co_u32_e32 v8, vcc, v10, v8
	v_addc_co_u32_e32 v9, vcc, 0, v9, vcc
	v_add_co_u32_e32 v4, vcc, v4, v8
	v_addc_co_u32_e32 v9, vcc, v7, v9, vcc
	v_mad_u64_u32 v[7:8], s[0:1], v5, v9, 0
	v_mul_hi_u32 v10, v5, v4
	v_add_co_u32_e32 v11, vcc, v10, v7
	v_addc_co_u32_e32 v12, vcc, 0, v8, vcc
	v_mad_u64_u32 v[7:8], s[0:1], v6, v4, 0
	v_mad_u64_u32 v[9:10], s[0:1], v6, v9, 0
	v_add_co_u32_e32 v4, vcc, v11, v7
	v_addc_co_u32_e32 v4, vcc, v12, v8, vcc
	v_addc_co_u32_e32 v7, vcc, 0, v10, vcc
	v_add_co_u32_e32 v4, vcc, v4, v9
	v_addc_co_u32_e32 v9, vcc, 0, v7, vcc
	v_mul_lo_u32 v10, s21, v4
	v_mul_lo_u32 v11, s20, v9
	v_mad_u64_u32 v[7:8], s[0:1], s20, v4, 0
	v_add3_u32 v8, v8, v11, v10
	v_sub_u32_e32 v10, v6, v8
	v_mov_b32_e32 v11, s21
	v_sub_co_u32_e32 v7, vcc, v5, v7
	v_subb_co_u32_e64 v10, s[0:1], v10, v11, vcc
	v_subrev_co_u32_e64 v11, s[0:1], s20, v7
	v_subbrev_co_u32_e64 v10, s[0:1], 0, v10, s[0:1]
	v_cmp_le_u32_e64 s[0:1], s21, v10
	v_cndmask_b32_e64 v12, 0, -1, s[0:1]
	v_cmp_le_u32_e64 s[0:1], s20, v11
	v_cndmask_b32_e64 v11, 0, -1, s[0:1]
	v_cmp_eq_u32_e64 s[0:1], s21, v10
	v_cndmask_b32_e64 v10, v12, v11, s[0:1]
	v_add_co_u32_e64 v11, s[0:1], 2, v4
	v_addc_co_u32_e64 v12, s[0:1], 0, v9, s[0:1]
	v_add_co_u32_e64 v13, s[0:1], 1, v4
	v_addc_co_u32_e64 v14, s[0:1], 0, v9, s[0:1]
	v_subb_co_u32_e32 v8, vcc, v6, v8, vcc
	v_cmp_ne_u32_e64 s[0:1], 0, v10
	v_cmp_le_u32_e32 vcc, s21, v8
	v_cndmask_b32_e64 v10, v14, v12, s[0:1]
	v_cndmask_b32_e64 v12, 0, -1, vcc
	v_cmp_le_u32_e32 vcc, s20, v7
	v_cndmask_b32_e64 v7, 0, -1, vcc
	v_cmp_eq_u32_e32 vcc, s21, v8
	v_cndmask_b32_e32 v7, v12, v7, vcc
	v_cmp_ne_u32_e32 vcc, 0, v7
	v_cndmask_b32_e64 v7, v13, v11, s[0:1]
	v_cndmask_b32_e32 v8, v9, v10, vcc
	v_cndmask_b32_e32 v7, v4, v7, vcc
.LBB0_4:                                ;   in Loop: Header=BB0_2 Depth=1
	s_andn2_saveexec_b64 s[0:1], s[22:23]
	s_cbranch_execz .LBB0_6
; %bb.5:                                ;   in Loop: Header=BB0_2 Depth=1
	v_cvt_f32_u32_e32 v4, s20
	s_sub_i32 s22, 0, s20
	v_rcp_iflag_f32_e32 v4, v4
	v_mul_f32_e32 v4, 0x4f7ffffe, v4
	v_cvt_u32_f32_e32 v4, v4
	v_mul_lo_u32 v7, s22, v4
	v_mul_hi_u32 v7, v4, v7
	v_add_u32_e32 v4, v4, v7
	v_mul_hi_u32 v4, v5, v4
	v_mul_lo_u32 v7, v4, s20
	v_add_u32_e32 v8, 1, v4
	v_sub_u32_e32 v7, v5, v7
	v_subrev_u32_e32 v9, s20, v7
	v_cmp_le_u32_e32 vcc, s20, v7
	v_cndmask_b32_e32 v7, v7, v9, vcc
	v_cndmask_b32_e32 v4, v4, v8, vcc
	v_add_u32_e32 v8, 1, v4
	v_cmp_le_u32_e32 vcc, s20, v7
	v_cndmask_b32_e32 v7, v4, v8, vcc
	v_mov_b32_e32 v8, v3
.LBB0_6:                                ;   in Loop: Header=BB0_2 Depth=1
	s_or_b64 exec, exec, s[0:1]
	v_mul_lo_u32 v4, v8, s20
	v_mul_lo_u32 v11, v7, s21
	v_mad_u64_u32 v[9:10], s[0:1], v7, s20, 0
	s_load_dwordx2 s[0:1], s[6:7], 0x0
	s_add_u32 s18, s18, 1
	v_add3_u32 v4, v10, v11, v4
	v_sub_co_u32_e32 v5, vcc, v5, v9
	v_subb_co_u32_e32 v4, vcc, v6, v4, vcc
	s_waitcnt lgkmcnt(0)
	v_mul_lo_u32 v4, s0, v4
	v_mul_lo_u32 v6, s1, v5
	v_mad_u64_u32 v[1:2], s[0:1], s0, v5, v[1:2]
	s_addc_u32 s19, s19, 0
	s_add_u32 s6, s6, 8
	v_add3_u32 v2, v6, v2, v4
	v_mov_b32_e32 v4, s10
	v_mov_b32_e32 v5, s11
	s_addc_u32 s7, s7, 0
	v_cmp_ge_u64_e32 vcc, s[18:19], v[4:5]
	s_add_u32 s16, s16, 8
	s_addc_u32 s17, s17, 0
	s_cbranch_vccnz .LBB0_9
; %bb.7:                                ;   in Loop: Header=BB0_2 Depth=1
	v_mov_b32_e32 v5, v7
	v_mov_b32_e32 v6, v8
	s_branch .LBB0_2
.LBB0_8:
	v_mov_b32_e32 v8, v6
	v_mov_b32_e32 v7, v5
.LBB0_9:
	s_lshl_b64 s[0:1], s[10:11], 3
	s_add_u32 s0, s2, s0
	s_addc_u32 s1, s3, s1
	s_load_dwordx2 s[2:3], s[0:1], 0x0
	s_load_dwordx2 s[6:7], s[4:5], 0x20
                                        ; implicit-def: $vgpr120
                                        ; implicit-def: $vgpr119
	s_waitcnt lgkmcnt(0)
	v_mad_u64_u32 v[1:2], s[0:1], s2, v7, v[1:2]
	s_mov_b32 s0, 0x2828283
	v_mul_lo_u32 v3, s2, v8
	v_mul_lo_u32 v4, s3, v7
	v_mul_hi_u32 v5, v0, s0
	v_cmp_gt_u64_e32 vcc, s[6:7], v[7:8]
	v_cmp_le_u64_e64 s[0:1], s[6:7], v[7:8]
	v_add3_u32 v2, v4, v2, v3
	v_mul_u32_u24_e32 v3, 0x66, v5
	v_sub_u32_e32 v118, v0, v3
	s_and_saveexec_b64 s[2:3], s[0:1]
	s_xor_b64 s[0:1], exec, s[2:3]
; %bb.10:
	v_add_u32_e32 v120, 0x66, v118
	v_add_u32_e32 v119, 0xcc, v118
; %bb.11:
	s_or_saveexec_b64 s[2:3], s[0:1]
	v_lshlrev_b64 v[80:81], 4, v[1:2]
                                        ; implicit-def: $vgpr10_vgpr11
                                        ; implicit-def: $vgpr14_vgpr15
                                        ; implicit-def: $vgpr6_vgpr7
                                        ; implicit-def: $vgpr18_vgpr19
                                        ; implicit-def: $vgpr22_vgpr23
                                        ; implicit-def: $vgpr26_vgpr27
                                        ; implicit-def: $vgpr30_vgpr31
                                        ; implicit-def: $vgpr34_vgpr35
                                        ; implicit-def: $vgpr38_vgpr39
                                        ; implicit-def: $vgpr42_vgpr43
                                        ; implicit-def: $vgpr50_vgpr51
                                        ; implicit-def: $vgpr62_vgpr63
                                        ; implicit-def: $vgpr66_vgpr67
                                        ; implicit-def: $vgpr58_vgpr59
                                        ; implicit-def: $vgpr54_vgpr55
                                        ; implicit-def: $vgpr46_vgpr47
                                        ; implicit-def: $vgpr2_vgpr3
	s_xor_b64 exec, exec, s[2:3]
	s_cbranch_execz .LBB0_13
; %bb.12:
	v_mad_u64_u32 v[0:1], s[0:1], s12, v118, 0
	v_add_u32_e32 v120, 0x66, v118
	v_mov_b32_e32 v4, s15
	v_mad_u64_u32 v[1:2], s[0:1], s13, v118, v[1:2]
	v_mad_u64_u32 v[2:3], s[0:1], s12, v120, 0
	v_add_co_u32_e64 v16, s[0:1], s14, v80
	v_addc_co_u32_e64 v17, s[0:1], v4, v81, s[0:1]
	v_mad_u64_u32 v[3:4], s[0:1], s13, v120, v[3:4]
	v_add_u32_e32 v119, 0xcc, v118
	v_mad_u64_u32 v[4:5], s[0:1], s12, v119, 0
	v_lshlrev_b64 v[0:1], 4, v[0:1]
	v_add_co_u32_e64 v8, s[0:1], v16, v0
	v_addc_co_u32_e64 v9, s[0:1], v17, v1, s[0:1]
	v_lshlrev_b64 v[0:1], 4, v[2:3]
	v_mov_b32_e32 v2, v5
	v_mad_u64_u32 v[2:3], s[0:1], s13, v119, v[2:3]
	v_add_u32_e32 v3, 0x132, v118
	v_mad_u64_u32 v[6:7], s[0:1], s12, v3, 0
	v_add_co_u32_e64 v10, s[0:1], v16, v0
	v_mov_b32_e32 v5, v2
	v_mov_b32_e32 v2, v7
	v_addc_co_u32_e64 v11, s[0:1], v17, v1, s[0:1]
	v_lshlrev_b64 v[0:1], 4, v[4:5]
	v_mad_u64_u32 v[2:3], s[0:1], s13, v3, v[2:3]
	v_add_u32_e32 v5, 0x198, v118
	v_mad_u64_u32 v[3:4], s[0:1], s12, v5, 0
	v_add_co_u32_e64 v12, s[0:1], v16, v0
	v_mov_b32_e32 v7, v2
	v_mov_b32_e32 v2, v4
	v_addc_co_u32_e64 v13, s[0:1], v17, v1, s[0:1]
	v_lshlrev_b64 v[0:1], 4, v[6:7]
	v_mad_u64_u32 v[4:5], s[0:1], s13, v5, v[2:3]
	v_add_u32_e32 v7, 0x1fe, v118
	v_mad_u64_u32 v[5:6], s[0:1], s12, v7, 0
	v_add_co_u32_e64 v14, s[0:1], v16, v0
	v_mov_b32_e32 v2, v6
	v_addc_co_u32_e64 v15, s[0:1], v17, v1, s[0:1]
	v_lshlrev_b64 v[0:1], 4, v[3:4]
	v_mad_u64_u32 v[2:3], s[0:1], s13, v7, v[2:3]
	v_add_u32_e32 v7, 0x264, v118
	v_mad_u64_u32 v[3:4], s[0:1], s12, v7, 0
	v_add_co_u32_e64 v68, s[0:1], v16, v0
	v_mov_b32_e32 v6, v2
	v_mov_b32_e32 v2, v4
	v_addc_co_u32_e64 v69, s[0:1], v17, v1, s[0:1]
	v_lshlrev_b64 v[0:1], 4, v[5:6]
	v_mad_u64_u32 v[4:5], s[0:1], s13, v7, v[2:3]
	v_add_u32_e32 v7, 0x2ca, v118
	v_mad_u64_u32 v[5:6], s[0:1], s12, v7, 0
	v_add_co_u32_e64 v70, s[0:1], v16, v0
	;; [unrolled: 15-line block ×6, first 2 shown]
	v_mov_b32_e32 v2, v6
	v_addc_co_u32_e64 v89, s[0:1], v17, v1, s[0:1]
	v_lshlrev_b64 v[0:1], 4, v[3:4]
	v_mad_u64_u32 v[2:3], s[0:1], s13, v7, v[2:3]
	v_add_u32_e32 v7, 0x660, v118
	v_mad_u64_u32 v[3:4], s[0:1], s12, v7, 0
	v_add_co_u32_e64 v90, s[0:1], v16, v0
	v_mov_b32_e32 v6, v2
	v_mov_b32_e32 v2, v4
	v_addc_co_u32_e64 v91, s[0:1], v17, v1, s[0:1]
	v_lshlrev_b64 v[0:1], 4, v[5:6]
	v_mad_u64_u32 v[4:5], s[0:1], s13, v7, v[2:3]
	v_add_co_u32_e64 v92, s[0:1], v16, v0
	v_addc_co_u32_e64 v93, s[0:1], v17, v1, s[0:1]
	v_lshlrev_b64 v[0:1], 4, v[3:4]
	v_add_co_u32_e64 v94, s[0:1], v16, v0
	v_addc_co_u32_e64 v95, s[0:1], v17, v1, s[0:1]
	global_load_dwordx4 v[0:3], v[8:9], off
	global_load_dwordx4 v[44:47], v[10:11], off
	;; [unrolled: 1-line block ×15, first 2 shown]
                                        ; kill: killed $vgpr8 killed $vgpr9
                                        ; kill: killed $vgpr74 killed $vgpr75
                                        ; kill: killed $vgpr76 killed $vgpr77
                                        ; kill: killed $vgpr78 killed $vgpr79
                                        ; kill: killed $vgpr82 killed $vgpr83
                                        ; kill: killed $vgpr12 killed $vgpr13
                                        ; kill: killed $vgpr84 killed $vgpr85
                                        ; kill: killed $vgpr14 killed $vgpr15
                                        ; kill: killed $vgpr86 killed $vgpr87
                                        ; kill: killed $vgpr68 killed $vgpr69
                                        ; kill: killed $vgpr10 killed $vgpr11
                                        ; kill: killed $vgpr88 killed $vgpr89
                                        ; kill: killed $vgpr70 killed $vgpr71
                                        ; kill: killed $vgpr90 killed $vgpr91
                                        ; kill: killed $vgpr72 killed $vgpr73
	global_load_dwordx4 v[12:15], v[92:93], off
	global_load_dwordx4 v[8:11], v[94:95], off
.LBB0_13:
	s_or_b64 exec, exec, s[2:3]
	s_waitcnt vmcnt(15)
	v_add_f64 v[74:75], v[46:47], v[2:3]
	v_add_f64 v[72:73], v[44:45], v[0:1]
	s_waitcnt vmcnt(4)
	v_add_f64 v[106:107], v[62:63], -v[22:23]
	v_add_f64 v[76:77], v[26:27], v[50:51]
	v_add_f64 v[104:105], v[50:51], -v[26:27]
	v_add_f64 v[102:103], v[42:43], -v[30:31]
	v_add_f64 v[68:69], v[34:35], v[38:39]
	v_add_f64 v[100:101], v[38:39], -v[34:35]
	v_add_f64 v[84:85], v[54:55], v[74:75]
	v_add_f64 v[78:79], v[52:53], v[72:73]
	;; [unrolled: 1-line block ×5, first 2 shown]
	v_add_f64 v[74:75], v[40:41], -v[28:29]
	v_add_f64 v[82:83], v[32:33], v[36:37]
	v_add_f64 v[70:71], v[36:37], -v[32:33]
	v_add_f64 v[96:97], v[58:59], v[84:85]
	v_add_f64 v[88:89], v[56:57], v[78:79]
	;; [unrolled: 1-line block ×3, first 2 shown]
	v_add_f64 v[78:79], v[48:49], -v[24:25]
	s_waitcnt vmcnt(3)
	v_add_f64 v[110:111], v[66:67], -v[18:19]
	v_add_f64 v[94:95], v[20:21], v[60:61]
	v_add_f64 v[86:87], v[60:61], -v[20:21]
	s_mov_b32 s24, 0x5d8e7cdc
	v_add_f64 v[112:113], v[66:67], v[96:97]
	v_add_f64 v[108:109], v[64:65], v[88:89]
	;; [unrolled: 1-line block ×3, first 2 shown]
	s_waitcnt vmcnt(2)
	v_add_f64 v[66:67], v[6:7], v[58:59]
	s_mov_b32 s2, 0xeb564b22
	s_mov_b32 s25, 0xbfd71e95
	;; [unrolled: 1-line block ×3, first 2 shown]
	v_add_f64 v[96:97], v[16:17], v[64:65]
	v_add_f64 v[62:63], v[62:63], v[112:113]
	;; [unrolled: 1-line block ×3, first 2 shown]
	v_add_f64 v[112:113], v[58:59], -v[6:7]
	v_add_f64 v[64:65], v[64:65], -v[16:17]
	s_waitcnt vmcnt(1)
	v_add_f64 v[58:59], v[14:15], v[54:55]
	v_add_f64 v[114:115], v[54:55], -v[14:15]
	s_waitcnt vmcnt(0)
	v_add_f64 v[54:55], v[8:9], v[44:45]
	v_add_f64 v[44:45], v[44:45], -v[8:9]
	v_add_f64 v[50:51], v[50:51], v[62:63]
	v_add_f64 v[48:49], v[48:49], v[108:109]
	;; [unrolled: 1-line block ×3, first 2 shown]
	v_add_f64 v[46:47], v[46:47], -v[10:11]
	s_mov_b32 s34, 0x370991
	s_mov_b32 s22, 0x2a9d6da3
	;; [unrolled: 1-line block ×4, first 2 shown]
	v_add_f64 v[42:43], v[42:43], v[50:51]
	v_add_f64 v[40:41], v[40:41], v[48:49]
	s_mov_b32 s6, 0x923c349f
	s_mov_b32 s16, 0x6c9a05f6
	;; [unrolled: 1-line block ×6, first 2 shown]
	v_add_f64 v[38:39], v[38:39], v[42:43]
	v_add_f64 v[36:37], v[36:37], v[40:41]
	s_mov_b32 s5, 0xbfeca52d
	s_mov_b32 s11, 0x3fb79ee6
	;; [unrolled: 1-line block ×6, first 2 shown]
	v_add_f64 v[34:35], v[34:35], v[38:39]
	v_add_f64 v[32:33], v[32:33], v[36:37]
	;; [unrolled: 1-line block ×3, first 2 shown]
	v_add_f64 v[56:57], v[56:57], -v[4:5]
	v_mul_f64 v[36:37], v[46:47], s[30:31]
	v_mul_f64 v[38:39], v[44:45], s[22:23]
	s_mov_b32 s26, 0x75d4884
	s_mov_b32 s20, 0xc61f0d01
	v_add_f64 v[30:31], v[30:31], v[34:35]
	v_add_f64 v[28:29], v[28:29], v[32:33]
	v_mul_f64 v[32:33], v[46:47], s[6:7]
	v_mul_f64 v[34:35], v[46:47], s[16:17]
	s_mov_b32 s28, 0x6ed5f1bb
	s_mov_b32 s36, 0x910ea3b9
	;; [unrolled: 1-line block ×4, first 2 shown]
	v_add_f64 v[26:27], v[26:27], v[30:31]
	v_add_f64 v[24:25], v[24:25], v[28:29]
	v_mul_f64 v[28:29], v[46:47], s[24:25]
	v_mul_f64 v[30:31], v[46:47], s[2:3]
	s_mov_b32 s29, 0xbfe348c8
	s_mov_b32 s37, 0xbfeb34fa
	v_add_f64 v[60:61], v[12:13], v[52:53]
	v_add_f64 v[52:53], v[52:53], -v[12:13]
	v_add_f64 v[22:23], v[22:23], v[26:27]
	v_add_f64 v[20:21], v[20:21], v[24:25]
	v_mul_f64 v[24:25], v[46:47], s[22:23]
	v_mul_f64 v[26:27], v[46:47], s[4:5]
	v_fma_f64 v[42:43], v[54:55], s[34:35], v[28:29]
	v_fma_f64 v[48:49], v[54:55], s[10:11], v[30:31]
	v_fma_f64 v[50:51], v[54:55], s[10:11], -v[30:31]
	v_mul_f64 v[30:31], v[44:45], s[16:17]
	v_add_f64 v[18:19], v[18:19], v[22:23]
	v_add_f64 v[16:17], v[16:17], v[20:21]
	v_mul_f64 v[20:21], v[46:47], s[38:39]
	v_fma_f64 v[46:47], v[54:55], s[34:35], -v[28:29]
	v_mul_f64 v[22:23], v[44:45], s[24:25]
	v_mul_f64 v[40:41], v[44:45], s[4:5]
	v_fma_f64 v[121:122], v[54:55], s[28:29], v[34:35]
	v_fma_f64 v[123:124], v[54:55], s[28:29], -v[34:35]
	v_add_f64 v[6:7], v[6:7], v[18:19]
	v_add_f64 v[4:5], v[4:5], v[16:17]
	v_fma_f64 v[125:126], v[54:55], s[36:37], v[36:37]
	v_fma_f64 v[127:128], v[54:55], s[36:37], -v[36:37]
	v_mul_f64 v[34:35], v[44:45], s[30:31]
	v_mul_f64 v[36:37], v[44:45], s[38:39]
	v_fma_f64 v[137:138], v[62:63], s[28:29], -v[30:31]
	s_mov_b32 s18, 0x2b2883cd
	v_add_f64 v[6:7], v[14:15], v[6:7]
	v_mul_f64 v[14:15], v[44:45], s[6:7]
	v_add_f64 v[4:5], v[12:13], v[4:5]
	v_fma_f64 v[12:13], v[62:63], s[26:27], v[38:39]
	s_mov_b32 s40, 0x7faef3
	s_mov_b32 s19, 0x3fdc86fa
	s_mov_b32 s41, 0xbfef7484
	v_fma_f64 v[16:17], v[54:55], s[26:27], v[24:25]
	v_add_f64 v[28:29], v[10:11], v[6:7]
	v_mul_f64 v[6:7], v[44:45], s[2:3]
	v_fma_f64 v[135:136], v[62:63], s[20:21], v[14:15]
	v_fma_f64 v[18:19], v[54:55], s[26:27], -v[24:25]
	v_fma_f64 v[24:25], v[54:55], s[18:19], v[26:27]
	v_fma_f64 v[26:27], v[54:55], s[18:19], -v[26:27]
	;; [unrolled: 2-line block ×3, first 2 shown]
	v_add_f64 v[129:130], v[8:9], v[4:5]
	v_fma_f64 v[44:45], v[62:63], s[10:11], -v[6:7]
	v_fma_f64 v[131:132], v[54:55], s[40:41], v[20:21]
	v_fma_f64 v[20:21], v[54:55], s[40:41], -v[20:21]
	v_fma_f64 v[4:5], v[62:63], s[34:35], -v[22:23]
	v_fma_f64 v[8:9], v[62:63], s[34:35], v[22:23]
	v_fma_f64 v[10:11], v[62:63], s[26:27], -v[38:39]
	v_fma_f64 v[22:23], v[62:63], s[18:19], -v[40:41]
	v_fma_f64 v[32:33], v[62:63], s[18:19], v[40:41]
	v_fma_f64 v[54:55], v[62:63], s[10:11], v[6:7]
	v_fma_f64 v[133:134], v[62:63], s[20:21], -v[14:15]
	v_fma_f64 v[139:140], v[62:63], s[28:29], v[30:31]
	v_fma_f64 v[141:142], v[62:63], s[36:37], -v[34:35]
	;; [unrolled: 2-line block ×3, first 2 shown]
	v_fma_f64 v[147:148], v[62:63], s[40:41], v[36:37]
	v_add_f64 v[62:63], v[0:1], v[42:43]
	v_add_f64 v[42:43], v[2:3], v[12:13]
	;; [unrolled: 1-line block ×3, first 2 shown]
	v_mul_f64 v[12:13], v[114:115], s[22:23]
	v_add_f64 v[36:37], v[2:3], v[135:136]
	v_add_f64 v[44:45], v[2:3], v[137:138]
	v_mul_f64 v[135:136], v[114:115], s[2:3]
	v_mul_f64 v[137:138], v[114:115], s[16:17]
	s_mov_b32 s45, 0x3fc7851a
	s_mov_b32 s44, s38
	v_add_f64 v[38:39], v[2:3], v[8:9]
	v_add_f64 v[149:150], v[0:1], v[16:17]
	;; [unrolled: 1-line block ×11, first 2 shown]
	v_fma_f64 v[108:109], v[60:61], s[26:27], v[12:13]
	v_mul_f64 v[10:11], v[112:113], s[4:5]
	v_add_f64 v[54:55], v[2:3], v[141:142]
	v_fma_f64 v[116:117], v[60:61], s[10:11], v[135:136]
	v_fma_f64 v[141:142], v[60:61], s[28:29], v[137:138]
	v_mul_f64 v[153:154], v[112:113], s[44:45]
	v_mul_f64 v[151:152], v[112:113], s[16:17]
	s_mov_b32 s43, 0x3feec746
	s_mov_b32 s42, s6
	v_add_f64 v[16:17], v[0:1], v[50:51]
	v_add_f64 v[50:51], v[2:3], v[139:140]
	;; [unrolled: 1-line block ×3, first 2 shown]
	v_fma_f64 v[108:109], v[98:99], s[18:19], v[10:11]
	v_mul_f64 v[139:140], v[110:111], s[2:3]
	v_add_f64 v[116:117], v[116:117], v[149:150]
	v_add_f64 v[24:25], v[141:142], v[24:25]
	v_fma_f64 v[149:150], v[98:99], s[40:41], v[153:154]
	v_mul_f64 v[161:162], v[110:111], s[42:43]
	v_fma_f64 v[141:142], v[98:99], s[28:29], v[151:152]
	v_mul_f64 v[159:160], v[110:111], s[38:39]
	s_mov_b32 s49, 0x3fe58eea
	s_mov_b32 s48, s22
	v_add_f64 v[108:109], v[108:109], v[62:63]
	v_fma_f64 v[155:156], v[96:97], s[10:11], v[139:140]
	v_mul_f64 v[157:158], v[106:107], s[6:7]
	v_add_f64 v[24:25], v[149:150], v[24:25]
	v_fma_f64 v[149:150], v[96:97], s[20:21], v[161:162]
	s_mov_b32 s51, 0x3fe0d888
	s_mov_b32 s50, s30
	v_mul_f64 v[165:166], v[106:107], s[48:49]
	v_add_f64 v[116:117], v[141:142], v[116:117]
	v_fma_f64 v[141:142], v[96:97], s[40:41], v[159:160]
	v_mul_f64 v[163:164], v[106:107], s[50:51]
	v_add_f64 v[62:63], v[2:3], v[143:144]
	v_add_f64 v[108:109], v[155:156], v[108:109]
	v_fma_f64 v[143:144], v[94:95], s[20:21], v[157:158]
	v_mul_f64 v[155:156], v[104:105], s[16:17]
	v_add_f64 v[24:25], v[149:150], v[24:25]
	v_fma_f64 v[149:150], v[94:95], s[26:27], v[165:166]
	v_mul_f64 v[173:174], v[104:105], s[24:25]
	v_mul_f64 v[179:180], v[114:115], s[38:39]
	;; [unrolled: 1-line block ×3, first 2 shown]
	v_add_f64 v[116:117], v[141:142], v[116:117]
	v_fma_f64 v[141:142], v[94:95], s[36:37], v[163:164]
	v_mul_f64 v[171:172], v[104:105], s[42:43]
	v_add_f64 v[143:144], v[143:144], v[108:109]
	v_fma_f64 v[167:168], v[92:93], s[28:29], v[155:156]
	v_mul_f64 v[169:170], v[102:103], s[30:31]
	v_add_f64 v[24:25], v[149:150], v[24:25]
	v_fma_f64 v[149:150], v[92:93], s[34:35], v[173:174]
	s_mov_b32 s47, 0x3feca52d
	s_mov_b32 s46, s4
	v_mul_f64 v[177:178], v[102:103], s[2:3]
	v_fma_f64 v[183:184], v[60:61], s[40:41], v[179:180]
	v_fma_f64 v[185:186], v[60:61], s[36:37], v[181:182]
	v_mul_f64 v[187:188], v[112:113], s[42:43]
	v_mul_f64 v[189:190], v[112:113], s[48:49]
	v_add_f64 v[116:117], v[141:142], v[116:117]
	v_fma_f64 v[141:142], v[92:93], s[20:21], v[171:172]
	v_mul_f64 v[175:176], v[102:103], s[46:47]
	s_mov_b32 s53, 0x3fd71e95
	s_mov_b32 s52, s24
	v_add_f64 v[108:109], v[2:3], v[145:146]
	v_add_f64 v[143:144], v[167:168], v[143:144]
	v_fma_f64 v[145:146], v[90:91], s[36:37], v[169:170]
	v_mul_f64 v[167:168], v[100:101], s[38:39]
	v_add_f64 v[24:25], v[149:150], v[24:25]
	v_fma_f64 v[149:150], v[90:91], s[10:11], v[177:178]
	v_mul_f64 v[193:194], v[100:101], s[30:31]
	v_add_f64 v[22:23], v[183:184], v[22:23]
	v_add_f64 v[26:27], v[185:186], v[26:27]
	v_fma_f64 v[183:184], v[98:99], s[20:21], v[187:188]
	v_fma_f64 v[185:186], v[98:99], s[26:27], v[189:190]
	v_mul_f64 v[195:196], v[110:111], s[52:53]
	v_mul_f64 v[197:198], v[110:111], s[4:5]
	v_add_f64 v[116:117], v[141:142], v[116:117]
	v_fma_f64 v[141:142], v[90:91], s[18:19], v[175:176]
	v_mul_f64 v[191:192], v[100:101], s[52:53]
	v_add_f64 v[143:144], v[145:146], v[143:144]
	v_fma_f64 v[145:146], v[82:83], s[40:41], v[167:168]
	v_add_f64 v[24:25], v[149:150], v[24:25]
	v_fma_f64 v[149:150], v[82:83], s[36:37], v[193:194]
	v_add_f64 v[22:23], v[183:184], v[22:23]
	v_add_f64 v[26:27], v[185:186], v[26:27]
	v_fma_f64 v[183:184], v[96:97], s[34:35], v[195:196]
	v_fma_f64 v[185:186], v[96:97], s[18:19], v[197:198]
	v_mul_f64 v[199:200], v[106:107], s[4:5]
	v_mul_f64 v[201:202], v[106:107], s[38:39]
	v_add_f64 v[116:117], v[141:142], v[116:117]
	v_fma_f64 v[141:142], v[82:83], s[34:35], v[191:192]
	v_add_f64 v[6:7], v[0:1], v[46:47]
	v_add_f64 v[46:47], v[2:3], v[133:134]
	;; [unrolled: 1-line block ×12, first 2 shown]
	v_fma_f64 v[143:144], v[94:95], s[18:19], v[199:200]
	v_fma_f64 v[145:146], v[94:95], s[40:41], v[201:202]
	v_mul_f64 v[149:150], v[104:105], s[30:31]
	v_add_f64 v[141:142], v[141:142], v[116:117]
	s_movk_i32 s0, 0x88
	v_mad_u32_u24 v121, v118, s0, 0
	s_mov_b32 s55, 0x3fefdd0d
	s_mov_b32 s54, s2
	v_add_f64 v[4:5], v[2:3], v[4:5]
	v_add_f64 v[32:33], v[2:3], v[32:33]
	;; [unrolled: 1-line block ×3, first 2 shown]
	ds_write2_b64 v121, v[129:130], v[20:21] offset1:1
	ds_write2_b64 v121, v[141:142], v[24:25] offset0:2 offset1:3
	v_add_f64 v[2:3], v[143:144], v[22:23]
	v_add_f64 v[20:21], v[145:146], v[26:27]
	v_fma_f64 v[22:23], v[92:93], s[36:37], v[149:150]
	v_mul_f64 v[24:25], v[114:115], s[42:43]
	v_mul_f64 v[26:27], v[104:105], s[54:55]
	s_mov_b32 s57, 0x3fe9895b
	s_mov_b32 s56, s16
	v_mul_f64 v[141:142], v[102:103], s[56:57]
	v_mul_f64 v[145:146], v[112:113], s[24:25]
	;; [unrolled: 1-line block ×3, first 2 shown]
	v_add_f64 v[2:3], v[22:23], v[2:3]
	v_fma_f64 v[143:144], v[60:61], s[20:21], v[24:25]
	v_fma_f64 v[22:23], v[92:93], s[10:11], v[26:27]
	v_mul_f64 v[205:206], v[110:111], s[30:31]
	v_mul_f64 v[128:129], v[114:115], s[46:47]
	v_fma_f64 v[203:204], v[90:91], s[28:29], v[141:142]
	v_mul_f64 v[185:186], v[112:113], s[2:3]
	v_mul_f64 v[213:214], v[104:105], s[22:23]
	;; [unrolled: 1-line block ×3, first 2 shown]
	v_add_f64 v[133:134], v[143:144], v[133:134]
	v_fma_f64 v[143:144], v[98:99], s[34:35], v[145:146]
	v_add_f64 v[20:21], v[22:23], v[20:21]
	v_fma_f64 v[22:23], v[90:91], s[34:35], v[147:148]
	v_add_f64 v[2:3], v[203:204], v[2:3]
	v_mul_f64 v[203:204], v[106:107], s[54:55]
	v_fma_f64 v[183:184], v[60:61], s[18:19], v[128:129]
	v_mul_f64 v[207:208], v[110:111], s[56:57]
	v_mul_f64 v[112:113], v[112:113], s[30:31]
	v_add_f64 v[133:134], v[143:144], v[133:134]
	v_fma_f64 v[143:144], v[96:97], s[36:37], v[205:206]
	v_add_f64 v[20:21], v[22:23], v[20:21]
	v_mul_f64 v[22:23], v[100:101], s[48:49]
	v_mul_f64 v[209:210], v[106:107], s[24:25]
	v_add_f64 v[124:125], v[183:184], v[124:125]
	v_fma_f64 v[183:184], v[98:99], s[10:11], v[185:186]
	v_mul_f64 v[110:111], v[110:111], s[48:49]
	v_mul_f64 v[211:212], v[100:101], s[16:17]
	v_add_f64 v[133:134], v[143:144], v[133:134]
	v_fma_f64 v[143:144], v[94:95], s[10:11], v[203:204]
	v_fma_f64 v[215:216], v[82:83], s[26:27], v[22:23]
	v_mul_f64 v[217:218], v[104:105], s[38:39]
	v_mul_f64 v[106:107], v[106:107], s[16:17]
	v_add_f64 v[124:125], v[183:184], v[124:125]
	v_fma_f64 v[183:184], v[96:97], s[28:29], v[207:208]
	v_fma_f64 v[219:220], v[82:83], s[28:29], v[211:212]
	v_mul_f64 v[104:105], v[104:105], s[46:47]
	v_add_f64 v[133:134], v[143:144], v[133:134]
	v_fma_f64 v[143:144], v[92:93], s[26:27], v[213:214]
	v_add_f64 v[2:3], v[215:216], v[2:3]
	v_fma_f64 v[215:216], v[60:61], s[34:35], v[114:115]
	v_fma_f64 v[114:115], v[60:61], s[34:35], -v[114:115]
	v_add_f64 v[124:125], v[183:184], v[124:125]
	v_fma_f64 v[183:184], v[94:95], s[34:35], v[209:210]
	v_fma_f64 v[24:25], v[60:61], s[20:21], -v[24:25]
	v_add_f64 v[20:21], v[219:220], v[20:21]
	v_add_f64 v[133:134], v[143:144], v[133:134]
	v_fma_f64 v[143:144], v[98:99], s[36:37], v[112:113]
	v_add_f64 v[130:131], v[215:216], v[131:132]
	v_add_f64 v[0:1], v[114:115], v[0:1]
	v_fma_f64 v[112:113], v[98:99], s[36:37], -v[112:113]
	v_add_f64 v[124:125], v[183:184], v[124:125]
	v_fma_f64 v[183:184], v[92:93], s[40:41], v[217:218]
	v_mul_f64 v[219:220], v[102:103], s[38:39]
	v_add_f64 v[24:25], v[24:25], v[122:123]
	v_fma_f64 v[122:123], v[98:99], s[34:35], -v[145:146]
	v_add_f64 v[114:115], v[143:144], v[130:131]
	v_fma_f64 v[130:131], v[96:97], s[26:27], v[110:111]
	v_add_f64 v[0:1], v[112:113], v[0:1]
	v_fma_f64 v[110:111], v[96:97], s[26:27], -v[110:111]
	v_add_f64 v[124:125], v[183:184], v[124:125]
	v_mul_f64 v[183:184], v[102:103], s[48:49]
	v_mul_f64 v[102:103], v[102:103], s[6:7]
	;; [unrolled: 1-line block ×4, first 2 shown]
	v_add_f64 v[112:113], v[130:131], v[114:115]
	v_fma_f64 v[114:115], v[94:95], s[28:29], v[106:107]
	v_add_f64 v[0:1], v[110:111], v[0:1]
	v_fma_f64 v[110:111], v[60:61], s[18:19], -v[128:129]
	v_fma_f64 v[106:107], v[94:95], s[28:29], -v[106:107]
	v_add_f64 v[24:25], v[122:123], v[24:25]
	v_mul_f64 v[100:101], v[100:101], s[54:55]
	v_fma_f64 v[122:123], v[96:97], s[28:29], -v[207:208]
	v_fma_f64 v[12:13], v[60:61], s[26:27], -v[12:13]
	v_add_f64 v[112:113], v[114:115], v[112:113]
	v_fma_f64 v[114:115], v[92:93], s[18:19], v[104:105]
	v_add_f64 v[110:111], v[110:111], v[126:127]
	v_fma_f64 v[126:127], v[98:99], s[10:11], -v[185:186]
	v_add_f64 v[0:1], v[106:107], v[0:1]
	v_fma_f64 v[104:105], v[92:93], s[18:19], -v[104:105]
	v_fma_f64 v[26:27], v[92:93], s[10:11], -v[26:27]
	v_add_f64 v[6:7], v[12:13], v[6:7]
	v_fma_f64 v[10:11], v[98:99], s[18:19], -v[10:11]
	v_add_f64 v[106:107], v[114:115], v[112:113]
	v_fma_f64 v[112:113], v[90:91], s[20:21], v[102:103]
	v_fma_f64 v[114:115], v[96:97], s[36:37], -v[205:206]
	v_add_f64 v[110:111], v[126:127], v[110:111]
	v_add_f64 v[0:1], v[104:105], v[0:1]
	v_fma_f64 v[102:103], v[90:91], s[20:21], -v[102:103]
	v_mul_f64 v[126:127], v[56:57], s[4:5]
	v_add_f64 v[6:7], v[10:11], v[6:7]
	v_fma_f64 v[10:11], v[96:97], s[10:11], -v[139:140]
	v_add_f64 v[104:105], v[112:113], v[106:107]
	v_fma_f64 v[106:107], v[60:61], s[40:41], -v[179:180]
	;; [unrolled: 2-line block ×3, first 2 shown]
	v_fma_f64 v[114:115], v[82:83], s[10:11], v[100:101]
	v_add_f64 v[110:111], v[122:123], v[110:111]
	v_fma_f64 v[122:123], v[94:95], s[34:35], -v[209:210]
	v_add_f64 v[0:1], v[102:103], v[0:1]
	v_fma_f64 v[102:103], v[60:61], s[36:37], -v[181:182]
	;; [unrolled: 2-line block ×4, first 2 shown]
	v_add_f64 v[104:105], v[114:115], v[104:105]
	v_add_f64 v[110:111], v[122:123], v[110:111]
	v_fma_f64 v[114:115], v[92:93], s[40:41], -v[217:218]
	v_add_f64 v[18:19], v[102:103], v[18:19]
	v_fma_f64 v[102:103], v[98:99], s[26:27], -v[189:190]
	;; [unrolled: 2-line block ×4, first 2 shown]
	v_fma_f64 v[100:101], v[82:83], s[10:11], -v[100:101]
	v_add_f64 v[110:111], v[114:115], v[110:111]
	v_fma_f64 v[114:115], v[90:91], s[26:27], -v[183:184]
	v_add_f64 v[18:19], v[102:103], v[18:19]
	;; [unrolled: 2-line block ×5, first 2 shown]
	v_add_f64 v[100:101], v[114:115], v[110:111]
	v_fma_f64 v[110:111], v[60:61], s[10:11], -v[135:136]
	v_add_f64 v[18:19], v[102:103], v[18:19]
	v_fma_f64 v[102:103], v[94:95], s[40:41], -v[201:202]
	;; [unrolled: 2-line block ×4, first 2 shown]
	v_fma_f64 v[60:61], v[96:97], s[40:41], -v[159:160]
	v_add_f64 v[14:15], v[110:111], v[14:15]
	v_fma_f64 v[110:111], v[98:99], s[28:29], -v[151:152]
	v_add_f64 v[18:19], v[102:103], v[18:19]
	v_mul_f64 v[102:103], v[52:53], s[22:23]
	v_add_f64 v[16:17], v[106:107], v[16:17]
	v_fma_f64 v[106:107], v[98:99], s[40:41], -v[153:154]
	v_add_f64 v[8:9], v[112:113], v[8:9]
	v_fma_f64 v[98:99], v[66:67], s[18:19], -v[126:127]
	v_add_f64 v[6:7], v[10:11], v[6:7]
	v_add_f64 v[14:15], v[110:111], v[14:15]
	;; [unrolled: 1-line block ×3, first 2 shown]
	v_fma_f64 v[110:111], v[58:59], s[26:27], -v[102:103]
	v_fma_f64 v[26:27], v[90:91], s[28:29], -v[141:142]
	;; [unrolled: 1-line block ×3, first 2 shown]
	v_add_f64 v[8:9], v[106:107], v[8:9]
	v_mul_f64 v[106:107], v[64:65], s[2:3]
	v_fma_f64 v[215:216], v[90:91], s[40:41], v[219:220]
	v_add_f64 v[12:13], v[60:61], v[14:15]
	v_fma_f64 v[60:61], v[94:95], s[36:37], -v[163:164]
	v_add_f64 v[4:5], v[110:111], v[4:5]
	v_fma_f64 v[14:15], v[96:97], s[20:21], -v[161:162]
	v_add_f64 v[16:17], v[26:27], v[16:17]
	v_add_f64 v[6:7], v[10:11], v[6:7]
	v_fma_f64 v[26:27], v[88:89], s[10:11], -v[106:107]
	v_fma_f64 v[10:11], v[92:93], s[28:29], -v[155:156]
	;; [unrolled: 1-line block ×3, first 2 shown]
	v_add_f64 v[12:13], v[60:61], v[12:13]
	v_add_f64 v[4:5], v[98:99], v[4:5]
	v_mul_f64 v[60:61], v[86:87], s[6:7]
	v_add_f64 v[8:9], v[14:15], v[8:9]
	v_fma_f64 v[14:15], v[94:95], s[26:27], -v[165:166]
	v_mul_f64 v[98:99], v[78:79], s[16:17]
	v_add_f64 v[6:7], v[10:11], v[6:7]
	v_fma_f64 v[10:11], v[90:91], s[36:37], -v[169:170]
	;; [unrolled: 3-line block ×3, first 2 shown]
	v_fma_f64 v[143:144], v[90:91], s[26:27], v[183:184]
	v_add_f64 v[8:9], v[14:15], v[8:9]
	v_fma_f64 v[14:15], v[92:93], s[34:35], -v[173:174]
	v_add_f64 v[132:133], v[215:216], v[133:134]
	v_fma_f64 v[215:216], v[82:83], s[18:19], v[221:222]
	v_fma_f64 v[94:95], v[90:91], s[34:35], -v[147:148]
	v_add_f64 v[12:13], v[96:97], v[12:13]
	v_add_f64 v[4:5], v[26:27], v[4:5]
	v_fma_f64 v[26:27], v[76:77], s[28:29], -v[98:99]
	v_fma_f64 v[92:93], v[90:91], s[10:11], -v[177:178]
	v_add_f64 v[8:9], v[14:15], v[8:9]
	v_fma_f64 v[14:15], v[90:91], s[18:19], -v[175:176]
	v_add_f64 v[6:7], v[10:11], v[6:7]
	v_fma_f64 v[10:11], v[72:73], s[36:37], -v[110:111]
	v_mul_f64 v[128:129], v[70:71], s[38:39]
	v_add_f64 v[124:125], v[143:144], v[124:125]
	v_add_f64 v[4:5], v[26:27], v[4:5]
	v_add_f64 v[130:131], v[215:216], v[132:133]
	v_fma_f64 v[132:133], v[82:83], s[20:21], v[223:224]
	v_fma_f64 v[114:115], v[82:83], s[20:21], -v[223:224]
	v_add_f64 v[18:19], v[94:95], v[18:19]
	v_fma_f64 v[22:23], v[82:83], s[26:27], -v[22:23]
	v_add_f64 v[12:13], v[14:15], v[12:13]
	;; [unrolled: 2-line block ×3, first 2 shown]
	v_fma_f64 v[26:27], v[82:83], s[34:35], -v[191:192]
	v_fma_f64 v[90:91], v[82:83], s[36:37], -v[193:194]
	;; [unrolled: 1-line block ×3, first 2 shown]
	v_add_f64 v[4:5], v[10:11], v[4:5]
	v_fma_f64 v[10:11], v[68:69], s[40:41], -v[128:129]
	v_add_f64 v[124:125], v[132:133], v[124:125]
	v_add_f64 v[92:93], v[114:115], v[100:101]
	;; [unrolled: 1-line block ×7, first 2 shown]
	ds_write2_b64 v121, v[2:3], v[20:21] offset0:4 offset1:5
	ds_write2_b64 v121, v[130:131], v[124:125] offset0:6 offset1:7
	;; [unrolled: 1-line block ×6, first 2 shown]
	v_add_f64 v[100:101], v[10:11], v[4:5]
	v_mul_f64 v[130:131], v[52:53], s[2:3]
	v_mul_f64 v[132:133], v[52:53], s[16:17]
	v_lshlrev_b32_e32 v114, 7, v118
	v_sub_u32_e32 v115, v121, v114
	v_lshl_add_u32 v113, v120, 3, 0
	v_add_u32_e32 v124, 0x2000, v115
	ds_write_b64 v121, v[6:7] offset:128
	s_waitcnt lgkmcnt(0)
	s_barrier
	v_lshl_add_u32 v112, v119, 3, 0
	v_add_u32_e32 v122, 0x800, v115
	v_add_u32_e32 v90, 0xc00, v115
	;; [unrolled: 1-line block ×6, first 2 shown]
	ds_read_b64 v[94:95], v113
	ds_read_b64 v[82:83], v115
	;; [unrolled: 1-line block ×3, first 2 shown]
	ds_read2_b64 v[24:27], v122 offset0:50 offset1:152
	ds_read2_b64 v[20:23], v90 offset0:126 offset1:228
	;; [unrolled: 1-line block ×7, first 2 shown]
	s_waitcnt lgkmcnt(0)
	v_fma_f64 v[102:103], v[58:59], s[26:27], v[102:103]
	s_barrier
	v_fma_f64 v[134:135], v[58:59], s[10:11], -v[130:131]
	v_mul_f64 v[136:137], v[52:53], s[38:39]
	v_fma_f64 v[130:131], v[58:59], s[10:11], v[130:131]
	ds_write2_b64 v121, v[28:29], v[100:101] offset1:1
	v_fma_f64 v[28:29], v[58:59], s[28:29], -v[132:133]
	v_fma_f64 v[100:101], v[58:59], s[28:29], v[132:133]
	v_add_f64 v[38:39], v[102:103], v[38:39]
	v_mul_f64 v[132:133], v[52:53], s[50:51]
	v_fma_f64 v[102:103], v[58:59], s[40:41], -v[136:137]
	v_add_f64 v[42:43], v[130:131], v[42:43]
	v_fma_f64 v[130:131], v[58:59], s[40:41], v[136:137]
	v_add_f64 v[40:41], v[134:135], v[40:41]
	v_add_f64 v[28:29], v[28:29], v[30:31]
	v_mul_f64 v[30:31], v[52:53], s[42:43]
	v_add_f64 v[32:33], v[100:101], v[32:33]
	v_mul_f64 v[100:101], v[52:53], s[46:47]
	v_mul_f64 v[52:53], v[52:53], s[52:53]
	v_add_f64 v[34:35], v[102:103], v[34:35]
	v_add_f64 v[48:49], v[130:131], v[48:49]
	v_fma_f64 v[102:103], v[58:59], s[36:37], -v[132:133]
	v_fma_f64 v[130:131], v[58:59], s[36:37], v[132:133]
	v_fma_f64 v[132:133], v[58:59], s[20:21], -v[30:31]
	v_fma_f64 v[30:31], v[58:59], s[20:21], v[30:31]
	v_fma_f64 v[134:135], v[58:59], s[18:19], -v[100:101]
	v_fma_f64 v[100:101], v[58:59], s[18:19], v[100:101]
	v_fma_f64 v[136:137], v[58:59], s[34:35], -v[52:53]
	v_fma_f64 v[52:53], v[58:59], s[34:35], v[52:53]
	v_mul_f64 v[58:59], v[56:57], s[16:17]
	v_add_f64 v[46:47], v[102:103], v[46:47]
	v_fma_f64 v[102:103], v[66:67], s[18:19], v[126:127]
	v_add_f64 v[30:31], v[30:31], v[50:51]
	v_add_f64 v[50:51], v[134:135], v[54:55]
	v_mul_f64 v[54:55], v[56:57], s[44:45]
	v_add_f64 v[62:63], v[100:101], v[62:63]
	v_mul_f64 v[126:127], v[56:57], s[42:43]
	v_fma_f64 v[100:101], v[66:67], s[28:29], -v[58:59]
	v_fma_f64 v[58:59], v[66:67], s[28:29], v[58:59]
	v_add_f64 v[52:53], v[52:53], v[116:117]
	v_add_f64 v[38:39], v[102:103], v[38:39]
	v_mul_f64 v[102:103], v[56:57], s[48:49]
	v_fma_f64 v[116:117], v[66:67], s[40:41], -v[54:55]
	v_fma_f64 v[54:55], v[66:67], s[40:41], v[54:55]
	v_add_f64 v[36:37], v[130:131], v[36:37]
	v_add_f64 v[40:41], v[100:101], v[40:41]
	;; [unrolled: 1-line block ×3, first 2 shown]
	v_fma_f64 v[58:59], v[66:67], s[20:21], v[126:127]
	v_fma_f64 v[100:101], v[66:67], s[20:21], -v[126:127]
	v_add_f64 v[44:45], v[132:133], v[44:45]
	v_add_f64 v[28:29], v[116:117], v[28:29]
	v_mul_f64 v[116:117], v[56:57], s[24:25]
	v_add_f64 v[32:33], v[54:55], v[32:33]
	v_mul_f64 v[54:55], v[56:57], s[2:3]
	v_mul_f64 v[56:57], v[56:57], s[30:31]
	v_add_f64 v[48:49], v[58:59], v[48:49]
	v_fma_f64 v[58:59], v[66:67], s[26:27], -v[102:103]
	v_add_f64 v[34:35], v[100:101], v[34:35]
	v_fma_f64 v[100:101], v[66:67], s[26:27], v[102:103]
	v_fma_f64 v[102:103], v[66:67], s[34:35], -v[116:117]
	v_fma_f64 v[116:117], v[66:67], s[34:35], v[116:117]
	v_fma_f64 v[126:127], v[66:67], s[10:11], -v[54:55]
	;; [unrolled: 2-line block ×3, first 2 shown]
	v_add_f64 v[46:47], v[58:59], v[46:47]
	v_mul_f64 v[58:59], v[64:65], s[38:39]
	v_fma_f64 v[56:57], v[66:67], s[36:37], v[56:57]
	v_mul_f64 v[66:67], v[64:65], s[42:43]
	v_add_f64 v[36:37], v[100:101], v[36:37]
	v_add_f64 v[44:45], v[102:103], v[44:45]
	v_fma_f64 v[100:101], v[88:89], s[10:11], v[106:107]
	v_add_f64 v[54:55], v[54:55], v[62:63]
	v_mul_f64 v[102:103], v[64:65], s[52:53]
	v_fma_f64 v[62:63], v[88:89], s[40:41], -v[58:59]
	v_fma_f64 v[58:59], v[88:89], s[40:41], v[58:59]
	v_add_f64 v[52:53], v[56:57], v[52:53]
	v_fma_f64 v[56:57], v[88:89], s[20:21], -v[66:67]
	v_fma_f64 v[66:67], v[88:89], s[20:21], v[66:67]
	v_add_f64 v[38:39], v[100:101], v[38:39]
	v_mul_f64 v[100:101], v[64:65], s[4:5]
	v_add_f64 v[108:109], v[136:137], v[108:109]
	v_add_f64 v[40:41], v[62:63], v[40:41]
	;; [unrolled: 1-line block ×3, first 2 shown]
	v_fma_f64 v[58:59], v[88:89], s[34:35], v[102:103]
	v_fma_f64 v[62:63], v[88:89], s[34:35], -v[102:103]
	v_add_f64 v[28:29], v[56:57], v[28:29]
	v_mul_f64 v[56:57], v[64:65], s[30:31]
	v_add_f64 v[32:33], v[66:67], v[32:33]
	v_mul_f64 v[66:67], v[64:65], s[56:57]
	v_add_f64 v[30:31], v[116:117], v[30:31]
	v_add_f64 v[105:106], v[130:131], v[108:109]
	;; [unrolled: 1-line block ×3, first 2 shown]
	v_fma_f64 v[58:59], v[88:89], s[18:19], -v[100:101]
	v_add_f64 v[34:35], v[62:63], v[34:35]
	v_mul_f64 v[62:63], v[64:65], s[48:49]
	v_fma_f64 v[64:65], v[88:89], s[18:19], v[100:101]
	v_fma_f64 v[100:101], v[88:89], s[36:37], -v[56:57]
	v_fma_f64 v[56:57], v[88:89], s[36:37], v[56:57]
	v_fma_f64 v[102:103], v[88:89], s[28:29], -v[66:67]
	v_fma_f64 v[66:67], v[88:89], s[28:29], v[66:67]
	v_add_f64 v[46:47], v[58:59], v[46:47]
	v_mul_f64 v[58:59], v[86:87], s[50:51]
	v_fma_f64 v[107:108], v[88:89], s[26:27], -v[62:63]
	v_fma_f64 v[62:63], v[88:89], s[26:27], v[62:63]
	v_add_f64 v[36:37], v[64:65], v[36:37]
	v_add_f64 v[30:31], v[56:57], v[30:31]
	v_mul_f64 v[56:57], v[86:87], s[48:49]
	v_add_f64 v[54:55], v[66:67], v[54:55]
	v_mul_f64 v[66:67], v[86:87], s[4:5]
	v_fma_f64 v[64:65], v[84:85], s[36:37], -v[58:59]
	v_fma_f64 v[58:59], v[84:85], s[36:37], v[58:59]
	v_fma_f64 v[60:61], v[84:85], s[20:21], v[60:61]
	v_add_f64 v[52:53], v[62:63], v[52:53]
	v_add_f64 v[44:45], v[100:101], v[44:45]
	v_fma_f64 v[62:63], v[84:85], s[26:27], -v[56:57]
	v_fma_f64 v[56:57], v[84:85], s[26:27], v[56:57]
	v_add_f64 v[50:51], v[126:127], v[50:51]
	v_add_f64 v[40:41], v[64:65], v[40:41]
	;; [unrolled: 1-line block ×3, first 2 shown]
	v_fma_f64 v[58:59], v[84:85], s[18:19], v[66:67]
	v_mul_f64 v[64:65], v[86:87], s[38:39]
	v_add_f64 v[38:39], v[60:61], v[38:39]
	v_fma_f64 v[60:61], v[84:85], s[18:19], -v[66:67]
	v_add_f64 v[28:29], v[62:63], v[28:29]
	v_mul_f64 v[62:63], v[86:87], s[54:55]
	v_add_f64 v[32:33], v[56:57], v[32:33]
	v_mul_f64 v[56:57], v[86:87], s[24:25]
	v_add_f64 v[48:49], v[58:59], v[48:49]
	v_fma_f64 v[58:59], v[84:85], s[40:41], -v[64:65]
	v_fma_f64 v[64:65], v[84:85], s[40:41], v[64:65]
	v_add_f64 v[34:35], v[60:61], v[34:35]
	v_mul_f64 v[60:61], v[86:87], s[16:17]
	v_fma_f64 v[66:67], v[84:85], s[10:11], -v[62:63]
	v_fma_f64 v[62:63], v[84:85], s[10:11], v[62:63]
	v_fma_f64 v[86:87], v[84:85], s[34:35], -v[56:57]
	v_fma_f64 v[56:57], v[84:85], s[34:35], v[56:57]
	v_add_f64 v[46:47], v[58:59], v[46:47]
	v_mul_f64 v[58:59], v[78:79], s[42:43]
	v_add_f64 v[36:37], v[64:65], v[36:37]
	v_fma_f64 v[100:101], v[84:85], s[28:29], -v[60:61]
	v_fma_f64 v[60:61], v[84:85], s[28:29], v[60:61]
	v_add_f64 v[30:31], v[62:63], v[30:31]
	v_mul_f64 v[62:63], v[78:79], s[24:25]
	v_add_f64 v[44:45], v[66:67], v[44:45]
	v_fma_f64 v[64:65], v[76:77], s[28:29], v[98:99]
	v_add_f64 v[54:55], v[56:57], v[54:55]
	v_fma_f64 v[56:57], v[76:77], s[20:21], -v[58:59]
	v_mul_f64 v[66:67], v[78:79], s[30:31]
	v_fma_f64 v[58:59], v[76:77], s[20:21], v[58:59]
	v_add_f64 v[52:53], v[60:61], v[52:53]
	v_fma_f64 v[60:61], v[76:77], s[34:35], -v[62:63]
	v_fma_f64 v[62:63], v[76:77], s[34:35], v[62:63]
	v_add_f64 v[38:39], v[64:65], v[38:39]
	v_mul_f64 v[64:65], v[78:79], s[54:55]
	v_add_f64 v[40:41], v[56:57], v[40:41]
	v_fma_f64 v[56:57], v[76:77], s[36:37], -v[66:67]
	v_add_f64 v[42:43], v[58:59], v[42:43]
	v_fma_f64 v[58:59], v[76:77], s[36:37], v[66:67]
	v_add_f64 v[28:29], v[60:61], v[28:29]
	v_mul_f64 v[60:61], v[78:79], s[22:23]
	v_add_f64 v[32:33], v[62:63], v[32:33]
	v_mul_f64 v[62:63], v[78:79], s[38:39]
	v_add_f64 v[50:51], v[102:103], v[50:51]
	v_add_f64 v[34:35], v[56:57], v[34:35]
	v_mul_f64 v[56:57], v[78:79], s[46:47]
	v_add_f64 v[48:49], v[58:59], v[48:49]
	v_fma_f64 v[58:59], v[76:77], s[10:11], -v[64:65]
	v_fma_f64 v[66:67], v[76:77], s[26:27], -v[60:61]
	v_fma_f64 v[60:61], v[76:77], s[26:27], v[60:61]
	v_fma_f64 v[64:65], v[76:77], s[10:11], v[64:65]
	v_fma_f64 v[78:79], v[76:77], s[40:41], -v[62:63]
	v_fma_f64 v[62:63], v[76:77], s[40:41], v[62:63]
	v_add_f64 v[50:51], v[86:87], v[50:51]
	v_fma_f64 v[86:87], v[76:77], s[18:19], -v[56:57]
	v_add_f64 v[46:47], v[58:59], v[46:47]
	v_mul_f64 v[58:59], v[74:75], s[46:47]
	v_fma_f64 v[56:57], v[76:77], s[18:19], v[56:57]
	v_add_f64 v[30:31], v[60:61], v[30:31]
	v_mul_f64 v[60:61], v[74:75], s[2:3]
	v_add_f64 v[36:37], v[64:65], v[36:37]
	v_add_f64 v[44:45], v[66:67], v[44:45]
	v_fma_f64 v[64:65], v[72:73], s[36:37], v[110:111]
	v_add_f64 v[54:55], v[62:63], v[54:55]
	v_fma_f64 v[62:63], v[72:73], s[18:19], -v[58:59]
	v_mul_f64 v[66:67], v[74:75], s[56:57]
	v_fma_f64 v[58:59], v[72:73], s[18:19], v[58:59]
	v_add_f64 v[88:89], v[107:108], v[105:106]
	v_add_f64 v[52:53], v[56:57], v[52:53]
	v_fma_f64 v[56:57], v[72:73], s[10:11], -v[60:61]
	v_add_f64 v[38:39], v[64:65], v[38:39]
	v_mul_f64 v[64:65], v[74:75], s[24:25]
	v_add_f64 v[40:41], v[62:63], v[40:41]
	v_fma_f64 v[62:63], v[72:73], s[28:29], -v[66:67]
	v_add_f64 v[42:43], v[58:59], v[42:43]
	v_fma_f64 v[58:59], v[72:73], s[28:29], v[66:67]
	v_add_f64 v[84:85], v[100:101], v[88:89]
	v_fma_f64 v[60:61], v[72:73], s[10:11], v[60:61]
	v_add_f64 v[28:29], v[56:57], v[28:29]
	v_mul_f64 v[56:57], v[74:75], s[38:39]
	v_add_f64 v[50:51], v[78:79], v[50:51]
	v_add_f64 v[34:35], v[62:63], v[34:35]
	v_mul_f64 v[62:63], v[74:75], s[6:7]
	v_add_f64 v[48:49], v[58:59], v[48:49]
	v_fma_f64 v[58:59], v[72:73], s[34:35], -v[64:65]
	v_add_f64 v[76:77], v[86:87], v[84:85]
	v_add_f64 v[32:33], v[60:61], v[32:33]
	v_mul_f64 v[60:61], v[74:75], s[48:49]
	v_fma_f64 v[64:65], v[72:73], s[34:35], v[64:65]
	v_fma_f64 v[66:67], v[72:73], s[40:41], -v[56:57]
	v_fma_f64 v[56:57], v[72:73], s[40:41], v[56:57]
	v_mul_f64 v[84:85], v[70:71], s[52:53]
	v_fma_f64 v[78:79], v[72:73], s[20:21], -v[62:63]
	v_fma_f64 v[62:63], v[72:73], s[20:21], v[62:63]
	v_add_f64 v[46:47], v[58:59], v[46:47]
	v_mul_f64 v[58:59], v[70:71], s[30:31]
	v_fma_f64 v[74:75], v[72:73], s[26:27], -v[60:61]
	v_add_f64 v[36:37], v[64:65], v[36:37]
	v_add_f64 v[44:45], v[66:67], v[44:45]
	v_mul_f64 v[64:65], v[70:71], s[48:49]
	v_add_f64 v[30:31], v[56:57], v[30:31]
	v_fma_f64 v[56:57], v[68:69], s[34:35], -v[84:85]
	v_fma_f64 v[66:67], v[68:69], s[34:35], v[84:85]
	v_fma_f64 v[60:61], v[72:73], s[26:27], v[60:61]
	v_fma_f64 v[72:73], v[68:69], s[36:37], -v[58:59]
	v_add_f64 v[52:53], v[62:63], v[52:53]
	v_mul_f64 v[62:63], v[70:71], s[16:17]
	v_add_f64 v[50:51], v[74:75], v[50:51]
	v_fma_f64 v[74:75], v[68:69], s[26:27], -v[64:65]
	v_add_f64 v[40:41], v[56:57], v[40:41]
	v_fma_f64 v[56:57], v[68:69], s[26:27], v[64:65]
	v_add_f64 v[42:43], v[66:67], v[42:43]
	v_mul_f64 v[64:65], v[70:71], s[46:47]
	v_mul_f64 v[66:67], v[70:71], s[6:7]
	v_mul_f64 v[70:71], v[70:71], s[54:55]
	v_add_f64 v[28:29], v[72:73], v[28:29]
	v_fma_f64 v[72:73], v[68:69], s[28:29], -v[62:63]
	v_add_f64 v[54:55], v[60:61], v[54:55]
	v_add_f64 v[60:61], v[78:79], v[76:77]
	;; [unrolled: 1-line block ×3, first 2 shown]
	v_fma_f64 v[74:75], v[68:69], s[18:19], -v[64:65]
	v_fma_f64 v[76:77], v[68:69], s[20:21], -v[66:67]
	v_fma_f64 v[78:79], v[68:69], s[10:11], -v[70:71]
	v_fma_f64 v[70:71], v[68:69], s[10:11], v[70:71]
	v_fma_f64 v[64:65], v[68:69], s[18:19], v[64:65]
	;; [unrolled: 1-line block ×5, first 2 shown]
	v_add_f64 v[48:49], v[56:57], v[48:49]
	v_fma_f64 v[56:57], v[68:69], s[40:41], v[128:129]
	v_add_f64 v[46:47], v[72:73], v[46:47]
	v_add_f64 v[44:45], v[74:75], v[44:45]
	;; [unrolled: 1-line block ×10, first 2 shown]
	s_movk_i32 s0, 0xf1
	ds_write2_b64 v121, v[40:41], v[28:29] offset0:2 offset1:3
	ds_write2_b64 v121, v[34:35], v[46:47] offset0:4 offset1:5
	;; [unrolled: 1-line block ×7, first 2 shown]
	ds_write_b64 v121, v[38:39] offset:128
	v_mul_lo_u16_sdwa v28, v118, s0 dst_sel:DWORD dst_unused:UNUSED_PAD src0_sel:BYTE_0 src1_sel:DWORD
	v_lshrrev_b16_e32 v116, 12, v28
	v_mul_lo_u16_e32 v28, 17, v116
	v_sub_u16_e32 v117, v118, v28
	v_mov_b32_e32 v28, 8
	v_lshlrev_b32_sdwa v48, v28, v117 dst_sel:DWORD dst_unused:UNUSED_PAD src0_sel:DWORD src1_sel:BYTE_0
	s_waitcnt lgkmcnt(0)
	s_barrier
	global_load_dwordx4 v[84:87], v48, s[8:9] offset:32
	global_load_dwordx4 v[97:100], v48, s[8:9] offset:48
	;; [unrolled: 1-line block ×4, first 2 shown]
	global_load_dwordx4 v[76:79], v48, s[8:9]
	global_load_dwordx4 v[40:43], v48, s[8:9] offset:96
	global_load_dwordx4 v[60:63], v48, s[8:9] offset:240
	;; [unrolled: 1-line block ×10, first 2 shown]
	ds_read2_b64 v[126:129], v122 offset0:50 offset1:152
	ds_read2_b64 v[130:133], v90 offset0:126 offset1:228
	global_load_dwordx4 v[48:51], v48, s[8:9] offset:160
	s_movk_i32 s0, 0x55
	v_cmp_gt_u32_e64 s[0:1], s0, v118
	s_waitcnt vmcnt(15) lgkmcnt(1)
	v_mul_f64 v[88:89], v[126:127], v[86:87]
	v_mul_f64 v[86:87], v[24:25], v[86:87]
	s_waitcnt vmcnt(13) lgkmcnt(0)
	v_mul_f64 v[109:110], v[130:131], v[107:108]
	v_mul_f64 v[101:102], v[128:129], v[99:100]
	;; [unrolled: 1-line block ×3, first 2 shown]
	v_fma_f64 v[90:91], v[24:25], v[84:85], v[88:89]
	v_mul_f64 v[24:25], v[20:21], v[107:108]
	v_fma_f64 v[20:21], v[20:21], v[105:106], v[109:110]
	ds_read_b64 v[108:109], v113
	v_fma_f64 v[88:89], v[126:127], v[84:85], -v[86:87]
	v_fma_f64 v[84:85], v[26:27], v[97:98], v[101:102]
	v_fma_f64 v[86:87], v[128:129], v[97:98], -v[99:100]
	s_waitcnt vmcnt(12)
	v_mul_f64 v[97:98], v[132:133], v[30:31]
	v_mul_f64 v[102:103], v[22:23], v[30:31]
	v_fma_f64 v[30:31], v[130:131], v[105:106], -v[24:25]
	s_waitcnt vmcnt(11) lgkmcnt(0)
	v_mul_f64 v[105:106], v[108:109], v[78:79]
	ds_read2_b64 v[24:27], v96 offset0:74 offset1:176
	ds_read_b64 v[134:135], v112
	ds_read_b64 v[100:101], v115
	ds_read2_b64 v[126:129], v125 offset0:122 offset1:224
	s_waitcnt vmcnt(9)
	v_mul_f64 v[110:111], v[18:19], v[62:63]
	v_fma_f64 v[96:97], v[22:23], v[28:29], v[97:98]
	v_fma_f64 v[98:99], v[132:133], v[28:29], -v[102:103]
	s_waitcnt lgkmcnt(3)
	v_mul_f64 v[22:23], v[24:25], v[42:43]
	v_mul_f64 v[28:29], v[94:95], v[78:79]
	s_waitcnt vmcnt(8) lgkmcnt(2)
	v_mul_f64 v[102:103], v[134:135], v[74:75]
	v_fma_f64 v[106:107], v[94:95], v[76:77], v[105:106]
	v_mul_f64 v[42:43], v[4:5], v[42:43]
	s_waitcnt vmcnt(7)
	v_mul_f64 v[94:95], v[26:27], v[34:35]
	ds_read2_b64 v[130:133], v123 offset0:150 offset1:252
	v_fma_f64 v[78:79], v[4:5], v[40:41], v[22:23]
	v_fma_f64 v[108:109], v[108:109], v[76:77], -v[28:29]
	s_waitcnt lgkmcnt(1)
	v_mul_f64 v[4:5], v[128:129], v[62:63]
	v_fma_f64 v[102:103], v[92:93], v[72:73], v[102:103]
	v_add_f64 v[28:29], v[82:83], v[106:107]
	v_fma_f64 v[76:77], v[128:129], v[60:61], -v[110:111]
	s_waitcnt vmcnt(6)
	v_mul_f64 v[62:63], v[16:17], v[70:71]
	v_mul_f64 v[92:93], v[92:93], v[74:75]
	;; [unrolled: 1-line block ×3, first 2 shown]
	v_fma_f64 v[22:23], v[6:7], v[32:33], v[94:95]
	v_fma_f64 v[110:111], v[18:19], v[60:61], v[4:5]
	s_waitcnt vmcnt(3)
	v_mul_f64 v[18:19], v[14:15], v[66:67]
	v_add_f64 v[4:5], v[28:29], v[102:103]
	v_add_f64 v[136:137], v[108:109], -v[76:77]
	v_fma_f64 v[74:75], v[126:127], v[68:69], -v[62:63]
	v_fma_f64 v[92:93], v[134:135], v[72:73], -v[92:93]
	ds_read2_b64 v[60:63], v104 offset0:46 offset1:148
	v_fma_f64 v[104:105], v[16:17], v[68:69], v[70:71]
	v_add_f64 v[134:135], v[106:107], v[110:111]
	s_waitcnt lgkmcnt(1)
	v_mul_f64 v[128:129], v[130:131], v[38:39]
	v_add_f64 v[4:5], v[4:5], v[90:91]
	v_mul_f64 v[138:139], v[136:137], s[24:25]
	s_waitcnt lgkmcnt(0)
	v_mul_f64 v[28:29], v[62:63], v[66:67]
	v_add_f64 v[140:141], v[92:93], -v[74:75]
	v_fma_f64 v[72:73], v[62:63], v[64:65], -v[18:19]
	s_waitcnt vmcnt(2)
	v_mul_f64 v[62:63], v[12:13], v[58:59]
	v_add_f64 v[142:143], v[102:103], v[104:105]
	ds_read2_b64 v[16:19], v124 offset0:98 offset1:200
	v_add_f64 v[4:5], v[4:5], v[84:85]
	v_fma_f64 v[66:67], v[134:135], s[34:35], v[138:139]
	v_fma_f64 v[94:95], v[14:15], v[64:65], v[28:29]
	v_mul_f64 v[144:145], v[140:141], s[22:23]
	v_add_f64 v[14:15], v[88:89], -v[72:73]
	v_mul_f64 v[28:29], v[60:61], v[58:59]
	v_fma_f64 v[70:71], v[60:61], v[56:57], -v[62:63]
	s_waitcnt vmcnt(1)
	v_mul_f64 v[58:59], v[10:11], v[54:55]
	v_add_f64 v[4:5], v[4:5], v[20:21]
	v_add_f64 v[60:61], v[82:83], v[66:67]
	;; [unrolled: 1-line block ×3, first 2 shown]
	v_fma_f64 v[62:63], v[142:143], s[26:27], v[144:145]
	v_mul_f64 v[148:149], v[14:15], s[4:5]
	v_fma_f64 v[68:69], v[12:13], v[56:57], v[28:29]
	v_add_f64 v[12:13], v[86:87], -v[70:71]
	s_waitcnt lgkmcnt(0)
	v_mul_f64 v[28:29], v[18:19], v[54:55]
	v_add_f64 v[4:5], v[4:5], v[96:97]
	v_fma_f64 v[66:67], v[18:19], v[52:53], -v[58:59]
	s_waitcnt vmcnt(0)
	v_mul_f64 v[18:19], v[8:9], v[50:51]
	v_add_f64 v[54:55], v[62:63], v[60:61]
	v_fma_f64 v[56:57], v[146:147], s[18:19], v[148:149]
	v_add_f64 v[62:63], v[84:85], v[68:69]
	v_mul_f64 v[150:151], v[12:13], s[2:3]
	v_fma_f64 v[64:65], v[10:11], v[52:53], v[28:29]
	v_add_f64 v[4:5], v[4:5], v[78:79]
	v_add_f64 v[10:11], v[30:31], -v[66:67]
	v_mul_f64 v[50:51], v[16:17], v[50:51]
	v_fma_f64 v[60:61], v[16:17], v[48:49], -v[18:19]
	v_mul_f64 v[126:127], v[132:133], v[46:47]
	v_fma_f64 v[28:29], v[0:1], v[36:37], v[128:129]
	v_add_f64 v[16:17], v[56:57], v[54:55]
	v_fma_f64 v[18:19], v[62:63], s[10:11], v[150:151]
	v_add_f64 v[4:5], v[4:5], v[22:23]
	v_add_f64 v[52:53], v[20:21], v[64:65]
	v_mul_f64 v[128:129], v[10:11], s[6:7]
	v_fma_f64 v[58:59], v[8:9], v[48:49], v[50:51]
	v_add_f64 v[48:49], v[98:99], -v[60:61]
	v_fma_f64 v[56:57], v[24:25], v[40:41], -v[42:43]
	v_mul_f64 v[24:25], v[2:3], v[46:47]
	v_fma_f64 v[54:55], v[2:3], v[44:45], v[126:127]
	v_add_f64 v[2:3], v[4:5], v[28:29]
	v_add_f64 v[4:5], v[18:19], v[16:17]
	v_fma_f64 v[16:17], v[52:53], s[20:21], v[128:129]
	v_add_f64 v[8:9], v[96:97], v[58:59]
	v_mul_f64 v[18:19], v[48:49], s[16:17]
	v_mul_f64 v[6:7], v[6:7], v[34:35]
	v_fma_f64 v[34:35], v[132:133], v[44:45], -v[24:25]
	v_mul_f64 v[0:1], v[0:1], v[38:39]
	v_add_f64 v[2:3], v[2:3], v[54:55]
	v_mul_f64 v[38:39], v[136:137], s[22:23]
	v_add_f64 v[4:5], v[16:17], v[4:5]
	v_mul_f64 v[42:43], v[136:137], s[4:5]
	v_fma_f64 v[16:17], v[8:9], s[28:29], v[18:19]
	v_fma_f64 v[24:25], v[26:27], v[32:33], -v[6:7]
	v_add_f64 v[40:41], v[56:57], -v[34:35]
	v_fma_f64 v[26:27], v[130:131], v[36:37], -v[0:1]
	v_add_f64 v[0:1], v[2:3], v[58:59]
	v_fma_f64 v[2:3], v[134:135], s[26:27], v[38:39]
	v_mul_f64 v[36:37], v[140:141], s[2:3]
	v_fma_f64 v[126:127], v[134:135], s[18:19], v[42:43]
	v_add_f64 v[16:17], v[16:17], v[4:5]
	v_add_f64 v[4:5], v[78:79], v[54:55]
	v_mul_f64 v[6:7], v[40:41], s[30:31]
	v_add_f64 v[44:45], v[24:25], -v[26:27]
	v_add_f64 v[32:33], v[0:1], v[64:65]
	v_add_f64 v[46:47], v[82:83], v[2:3]
	v_fma_f64 v[50:51], v[142:143], s[10:11], v[36:37]
	v_mul_f64 v[130:131], v[140:141], s[16:17]
	v_mul_f64 v[132:133], v[14:15], s[16:17]
	v_add_f64 v[0:1], v[22:23], v[28:29]
	v_fma_f64 v[152:153], v[4:5], s[36:37], v[6:7]
	v_mul_f64 v[2:3], v[44:45], s[38:39]
	v_add_f64 v[32:33], v[32:33], v[68:69]
	v_mul_f64 v[156:157], v[14:15], s[44:45]
	v_add_f64 v[46:47], v[50:51], v[46:47]
	v_add_f64 v[50:51], v[82:83], v[126:127]
	v_fma_f64 v[126:127], v[142:143], s[28:29], v[130:131]
	v_fma_f64 v[154:155], v[146:147], s[28:29], v[132:133]
	v_mul_f64 v[158:159], v[12:13], s[38:39]
	v_add_f64 v[16:17], v[152:153], v[16:17]
	v_fma_f64 v[152:153], v[0:1], s[40:41], v[2:3]
	v_add_f64 v[32:33], v[32:33], v[94:95]
	v_mul_f64 v[160:161], v[12:13], s[42:43]
	v_mul_f64 v[162:163], v[10:11], s[50:51]
	v_add_f64 v[50:51], v[126:127], v[50:51]
	v_add_f64 v[46:47], v[154:155], v[46:47]
	v_fma_f64 v[126:127], v[146:147], s[40:41], v[156:157]
	v_fma_f64 v[154:155], v[62:63], s[40:41], v[158:159]
	v_add_f64 v[16:17], v[152:153], v[16:17]
	v_mov_b32_e32 v152, 3
	v_lshlrev_b32_sdwa v117, v152, v117 dst_sel:DWORD dst_unused:UNUSED_PAD src0_sel:DWORD src1_sel:BYTE_0
	v_add_f64 v[152:153], v[32:33], v[104:105]
	v_mul_f64 v[164:165], v[10:11], s[48:49]
	v_mul_f64 v[166:167], v[48:49], s[42:43]
	v_add_f64 v[50:51], v[126:127], v[50:51]
	v_add_f64 v[46:47], v[154:155], v[46:47]
	v_fma_f64 v[126:127], v[62:63], s[20:21], v[160:161]
	v_fma_f64 v[154:155], v[52:53], s[36:37], v[162:163]
	v_mul_u32_u24_e32 v32, 0x908, v116
	v_add3_u32 v32, 0, v32, v117
	v_add_f64 v[116:117], v[152:153], v[110:111]
	v_fma_f64 v[152:153], v[8:9], s[20:21], v[166:167]
	v_mul_f64 v[170:171], v[48:49], s[24:25]
	v_mul_f64 v[172:173], v[40:41], s[46:47]
	v_add_f64 v[50:51], v[126:127], v[50:51]
	v_add_f64 v[46:47], v[154:155], v[46:47]
	v_fma_f64 v[126:127], v[52:53], s[26:27], v[164:165]
	v_mul_f64 v[154:155], v[136:137], s[2:3]
	v_mul_f64 v[168:169], v[136:137], s[6:7]
	;; [unrolled: 1-line block ×3, first 2 shown]
	v_fma_f64 v[178:179], v[8:9], s[34:35], v[170:171]
	v_fma_f64 v[180:181], v[4:5], s[18:19], v[172:173]
	v_mul_f64 v[184:185], v[44:45], s[52:53]
	v_add_f64 v[46:47], v[152:153], v[46:47]
	v_add_f64 v[50:51], v[126:127], v[50:51]
	v_fma_f64 v[126:127], v[134:135], s[10:11], v[154:155]
	v_mul_f64 v[152:153], v[140:141], s[38:39]
	v_fma_f64 v[174:175], v[134:135], s[20:21], v[168:169]
	v_mul_f64 v[176:177], v[140:141], s[50:51]
	s_barrier
	v_add_f64 v[46:47], v[180:181], v[46:47]
	v_add_f64 v[50:51], v[178:179], v[50:51]
	v_fma_f64 v[178:179], v[4:5], s[10:11], v[182:183]
	v_fma_f64 v[180:181], v[0:1], s[34:35], v[184:185]
	v_add_f64 v[126:127], v[82:83], v[126:127]
	v_fma_f64 v[186:187], v[142:143], s[40:41], v[152:153]
	v_add_f64 v[174:175], v[82:83], v[174:175]
	v_fma_f64 v[188:189], v[142:143], s[36:37], v[176:177]
	v_mul_f64 v[190:191], v[14:15], s[42:43]
	v_mul_f64 v[192:193], v[14:15], s[48:49]
	ds_write2_b64 v32, v[116:117], v[16:17] offset1:17
	v_add_f64 v[16:17], v[178:179], v[50:51]
	v_add_f64 v[50:51], v[180:181], v[46:47]
	v_mul_f64 v[46:47], v[136:137], s[16:17]
	v_mul_f64 v[202:203], v[136:137], s[30:31]
	;; [unrolled: 1-line block ×3, first 2 shown]
	v_add_f64 v[126:127], v[186:187], v[126:127]
	v_add_f64 v[174:175], v[188:189], v[174:175]
	v_fma_f64 v[186:187], v[146:147], s[20:21], v[190:191]
	v_fma_f64 v[188:189], v[146:147], s[26:27], v[192:193]
	v_mul_f64 v[196:197], v[12:13], s[4:5]
	v_mul_f64 v[200:201], v[140:141], s[42:43]
	;; [unrolled: 1-line block ×3, first 2 shown]
	v_fma_f64 v[240:241], v[134:135], s[40:41], v[136:137]
	v_mul_f64 v[140:141], v[140:141], s[52:53]
	v_fma_f64 v[136:137], v[134:135], s[40:41], -v[136:137]
	v_add_f64 v[116:117], v[186:187], v[126:127]
	v_add_f64 v[126:127], v[188:189], v[174:175]
	v_fma_f64 v[178:179], v[62:63], s[18:19], v[196:197]
	v_mul_f64 v[186:187], v[10:11], s[38:39]
	v_mul_f64 v[212:213], v[14:15], s[24:25]
	;; [unrolled: 1-line block ×3, first 2 shown]
	v_add_f64 v[240:241], v[82:83], v[240:241]
	v_fma_f64 v[244:245], v[142:143], s[34:35], v[140:141]
	v_add_f64 v[136:137], v[82:83], v[136:137]
	v_fma_f64 v[140:141], v[142:143], s[34:35], -v[140:141]
	v_mul_f64 v[14:15], v[14:15], s[30:31]
	v_mul_f64 v[194:195], v[12:13], s[52:53]
	v_fma_f64 v[198:199], v[134:135], s[28:29], v[46:47]
	v_add_f64 v[126:127], v[178:179], v[126:127]
	v_fma_f64 v[178:179], v[52:53], s[40:41], v[186:187]
	v_mul_f64 v[218:219], v[12:13], s[30:31]
	v_mul_f64 v[228:229], v[12:13], s[56:57]
	v_add_f64 v[240:241], v[244:245], v[240:241]
	v_add_f64 v[136:137], v[140:141], v[136:137]
	v_fma_f64 v[140:141], v[146:147], s[36:37], v[14:15]
	v_fma_f64 v[14:15], v[146:147], s[36:37], -v[14:15]
	v_mul_f64 v[12:13], v[12:13], s[48:49]
	v_mul_f64 v[180:181], v[10:11], s[4:5]
	v_add_f64 v[198:199], v[82:83], v[198:199]
	v_fma_f64 v[206:207], v[142:143], s[20:21], v[200:201]
	v_add_f64 v[126:127], v[178:179], v[126:127]
	v_mul_f64 v[178:179], v[48:49], s[54:55]
	v_mul_f64 v[230:231], v[10:11], s[54:55]
	v_mul_f64 v[232:233], v[10:11], s[24:25]
	v_add_f64 v[140:141], v[140:141], v[240:241]
	v_add_f64 v[14:15], v[14:15], v[136:137]
	v_fma_f64 v[136:137], v[62:63], s[26:27], v[12:13]
	v_fma_f64 v[12:13], v[62:63], s[26:27], -v[12:13]
	v_mul_f64 v[10:11], v[10:11], s[16:17]
	v_fma_f64 v[208:209], v[134:135], s[36:37], v[202:203]
	v_fma_f64 v[174:175], v[62:63], s[34:35], v[194:195]
	v_add_f64 v[198:199], v[206:207], v[198:199]
	v_fma_f64 v[214:215], v[146:147], s[34:35], v[212:213]
	v_fma_f64 v[222:223], v[8:9], s[10:11], v[178:179]
	v_mul_f64 v[226:227], v[40:41], s[24:25]
	v_add_f64 v[136:137], v[136:137], v[140:141]
	v_add_f64 v[12:13], v[12:13], v[14:15]
	v_fma_f64 v[14:15], v[52:53], s[28:29], v[10:11]
	v_fma_f64 v[46:47], v[134:135], s[28:29], -v[46:47]
	v_fma_f64 v[140:141], v[134:135], s[36:37], -v[202:203]
	;; [unrolled: 1-line block ×8, first 2 shown]
	v_add_f64 v[206:207], v[82:83], v[208:209]
	v_fma_f64 v[208:209], v[142:143], s[18:19], v[210:211]
	v_add_f64 v[116:117], v[174:175], v[116:117]
	v_fma_f64 v[174:175], v[52:53], s[18:19], v[180:181]
	;; [unrolled: 2-line block ×4, first 2 shown]
	v_add_f64 v[14:15], v[14:15], v[136:137]
	v_add_f64 v[46:47], v[82:83], v[46:47]
	;; [unrolled: 1-line block ×8, first 2 shown]
	v_fma_f64 v[134:135], v[142:143], s[20:21], -v[200:201]
	v_fma_f64 v[154:155], v[142:143], s[18:19], -v[210:211]
	;; [unrolled: 1-line block ×7, first 2 shown]
	v_add_f64 v[10:11], v[10:11], v[12:13]
	v_mul_f64 v[12:13], v[48:49], s[46:47]
	v_add_f64 v[206:207], v[208:209], v[206:207]
	v_fma_f64 v[208:209], v[146:147], s[10:11], v[216:217]
	v_add_f64 v[116:117], v[174:175], v[116:117]
	v_mul_f64 v[174:175], v[48:49], s[30:31]
	v_add_f64 v[198:199], v[214:215], v[198:199]
	v_fma_f64 v[214:215], v[52:53], s[10:11], v[230:231]
	v_mul_f64 v[234:235], v[48:49], s[22:23]
	v_add_f64 v[126:127], v[222:223], v[126:127]
	v_mul_f64 v[222:223], v[48:49], s[38:39]
	v_add_f64 v[46:47], v[134:135], v[46:47]
	v_add_f64 v[48:49], v[154:155], v[136:137]
	;; [unrolled: 1-line block ×7, first 2 shown]
	v_fma_f64 v[130:131], v[8:9], s[18:19], v[12:13]
	v_fma_f64 v[136:137], v[146:147], s[34:35], -v[212:213]
	v_fma_f64 v[138:139], v[146:147], s[10:11], -v[216:217]
	;; [unrolled: 1-line block ×8, first 2 shown]
	v_add_f64 v[206:207], v[208:209], v[206:207]
	v_fma_f64 v[208:209], v[62:63], s[28:29], v[228:229]
	v_add_f64 v[198:199], v[214:215], v[198:199]
	v_fma_f64 v[214:215], v[8:9], s[26:27], v[234:235]
	v_add_f64 v[14:15], v[130:131], v[14:15]
	v_add_f64 v[46:47], v[136:137], v[46:47]
	;; [unrolled: 1-line block ×7, first 2 shown]
	v_fma_f64 v[132:133], v[62:63], s[36:37], -v[218:219]
	v_fma_f64 v[134:135], v[62:63], s[28:29], -v[228:229]
	;; [unrolled: 1-line block ×7, first 2 shown]
	v_add_f64 v[10:11], v[12:13], v[10:11]
	v_mul_f64 v[12:13], v[40:41], s[6:7]
	v_add_f64 v[42:43], v[144:145], v[42:43]
	v_fma_f64 v[220:221], v[8:9], s[36:37], v[174:175]
	v_mul_f64 v[224:225], v[40:41], s[56:57]
	v_add_f64 v[206:207], v[208:209], v[206:207]
	v_fma_f64 v[208:209], v[52:53], s[34:35], v[232:233]
	v_add_f64 v[198:199], v[214:215], v[198:199]
	v_mul_f64 v[214:215], v[40:41], s[38:39]
	v_mul_f64 v[242:243], v[40:41], s[48:49]
	v_add_f64 v[40:41], v[132:133], v[46:47]
	v_add_f64 v[46:47], v[134:135], v[48:49]
	;; [unrolled: 1-line block ×5, first 2 shown]
	v_fma_f64 v[82:83], v[4:5], s[20:21], v[12:13]
	v_fma_f64 v[130:131], v[52:53], s[10:11], -v[230:231]
	v_fma_f64 v[132:133], v[52:53], s[34:35], -v[232:233]
	;; [unrolled: 1-line block ×7, first 2 shown]
	v_add_f64 v[38:39], v[140:141], v[38:39]
	v_add_f64 v[42:43], v[142:143], v[42:43]
	v_fma_f64 v[12:13], v[4:5], s[20:21], -v[12:13]
	v_add_f64 v[116:117], v[220:221], v[116:117]
	v_fma_f64 v[220:221], v[4:5], s[28:29], v[224:225]
	v_add_f64 v[206:207], v[208:209], v[206:207]
	v_fma_f64 v[208:209], v[8:9], s[40:41], v[222:223]
	v_add_f64 v[14:15], v[82:83], v[14:15]
	v_add_f64 v[40:41], v[130:131], v[40:41]
	;; [unrolled: 1-line block ×6, first 2 shown]
	v_fma_f64 v[62:63], v[8:9], s[26:27], -v[234:235]
	v_fma_f64 v[82:83], v[8:9], s[40:41], -v[222:223]
	v_fma_f64 v[18:19], v[8:9], s[28:29], -v[18:19]
	v_fma_f64 v[128:129], v[8:9], s[20:21], -v[166:167]
	v_fma_f64 v[130:131], v[8:9], s[34:35], -v[170:171]
	v_fma_f64 v[132:133], v[8:9], s[36:37], -v[174:175]
	v_fma_f64 v[8:9], v[8:9], s[10:11], -v[178:179]
	v_add_f64 v[38:39], v[136:137], v[38:39]
	v_add_f64 v[42:43], v[138:139], v[42:43]
	;; [unrolled: 1-line block ×3, first 2 shown]
	v_mul_f64 v[12:13], v[44:45], s[54:55]
	v_mul_f64 v[188:189], v[44:45], s[30:31]
	v_add_f64 v[116:117], v[220:221], v[116:117]
	v_mul_f64 v[220:221], v[44:45], s[48:49]
	v_mul_f64 v[238:239], v[44:45], s[16:17]
	v_add_f64 v[206:207], v[208:209], v[206:207]
	v_fma_f64 v[208:209], v[4:5], s[40:41], v[214:215]
	v_fma_f64 v[246:247], v[4:5], s[26:27], v[242:243]
	v_mul_f64 v[248:249], v[44:45], s[46:47]
	v_mul_f64 v[250:251], v[44:45], s[6:7]
	v_add_f64 v[40:41], v[62:63], v[40:41]
	v_add_f64 v[44:45], v[82:83], v[46:47]
	;; [unrolled: 1-line block ×5, first 2 shown]
	v_fma_f64 v[48:49], v[4:5], s[40:41], -v[214:215]
	v_fma_f64 v[52:53], v[4:5], s[26:27], -v[242:243]
	;; [unrolled: 1-line block ×7, first 2 shown]
	v_add_f64 v[38:39], v[130:131], v[38:39]
	v_add_f64 v[42:43], v[132:133], v[42:43]
	v_fma_f64 v[46:47], v[0:1], s[10:11], v[12:13]
	v_fma_f64 v[204:205], v[0:1], s[36:37], v[188:189]
	;; [unrolled: 1-line block ×4, first 2 shown]
	v_add_f64 v[198:199], v[208:209], v[198:199]
	v_add_f64 v[206:207], v[246:247], v[206:207]
	v_fma_f64 v[208:209], v[0:1], s[18:19], v[248:249]
	v_fma_f64 v[246:247], v[0:1], s[20:21], v[250:251]
	v_add_f64 v[4:5], v[4:5], v[8:9]
	v_fma_f64 v[8:9], v[0:1], s[10:11], -v[12:13]
	v_add_f64 v[40:41], v[48:49], v[40:41]
	v_add_f64 v[44:45], v[52:53], v[44:45]
	v_add_f64 v[6:7], v[6:7], v[18:19]
	v_add_f64 v[18:19], v[62:63], v[36:37]
	v_add_f64 v[36:37], v[82:83], v[38:39]
	v_add_f64 v[38:39], v[128:129], v[42:43]
	v_fma_f64 v[12:13], v[0:1], s[18:19], -v[248:249]
	v_fma_f64 v[42:43], v[0:1], s[20:21], -v[250:251]
	;; [unrolled: 1-line block ×4, first 2 shown]
	v_add_f64 v[14:15], v[46:47], v[14:15]
	v_fma_f64 v[46:47], v[0:1], s[34:35], -v[184:185]
	v_fma_f64 v[62:63], v[0:1], s[36:37], -v[188:189]
	v_fma_f64 v[0:1], v[0:1], s[40:41], -v[2:3]
	v_add_f64 v[16:17], v[204:205], v[16:17]
	v_add_f64 v[116:117], v[236:237], v[116:117]
	;; [unrolled: 1-line block ×13, first 2 shown]
	v_add_u32_e32 v0, 0x1000, v115
	ds_write2_b64 v32, v[50:51], v[16:17] offset0:34 offset1:51
	ds_write2_b64 v32, v[116:117], v[126:127] offset0:68 offset1:85
	;; [unrolled: 1-line block ×7, first 2 shown]
	ds_write_b64 v32, v[46:47] offset:2176
	s_waitcnt lgkmcnt(0)
	s_barrier
	ds_read_b64 v[52:53], v115
	ds_read_b64 v[62:63], v113
	ds_read2_b64 v[16:19], v122 offset0:33 offset1:135
	ds_read2_b64 v[0:3], v0 offset0:66 offset1:168
	;; [unrolled: 1-line block ×5, first 2 shown]
	v_sub_u32_e32 v33, 0, v114
	v_add_u32_e32 v82, v121, v33
                                        ; implicit-def: $vgpr50_vgpr51
	s_and_saveexec_b64 s[58:59], s[0:1]
	s_cbranch_execz .LBB0_15
; %bb.14:
	ds_read_b64 v[40:41], v112
	ds_read_b64 v[42:43], v82 offset:3944
	ds_read_b64 v[48:49], v82 offset:6256
	ds_read_b64 v[44:45], v82 offset:8568
	ds_read_b64 v[46:47], v82 offset:10880
	ds_read_b64 v[50:51], v82 offset:13192
.LBB0_15:
	s_or_b64 exec, exec, s[58:59]
	v_add_f64 v[36:37], v[100:101], v[108:109]
	v_add_f64 v[38:39], v[108:109], v[76:77]
	v_add_f64 v[106:107], v[106:107], -v[110:111]
	v_add_f64 v[108:109], v[92:93], v[74:75]
	v_add_f64 v[90:91], v[90:91], -v[94:95]
	v_add_f64 v[102:103], v[102:103], -v[104:105]
	v_add_f64 v[104:105], v[88:89], v[72:73]
	v_add_f64 v[68:69], v[84:85], -v[68:69]
	v_add_f64 v[36:37], v[36:37], v[92:93]
	v_mul_f64 v[92:93], v[38:39], s[34:35]
	v_mul_f64 v[94:95], v[38:39], s[26:27]
	v_mul_f64 v[110:111], v[38:39], s[18:19]
	v_mul_f64 v[114:115], v[38:39], s[10:11]
	v_mul_f64 v[116:117], v[38:39], s[20:21]
	v_mul_f64 v[121:122], v[38:39], s[28:29]
	v_mul_f64 v[123:124], v[38:39], s[36:37]
	v_add_f64 v[36:37], v[36:37], v[88:89]
	v_mul_f64 v[38:39], v[38:39], s[40:41]
	v_mul_f64 v[88:89], v[108:109], s[26:27]
	;; [unrolled: 1-line block ×5, first 2 shown]
	v_fma_f64 v[147:148], v[106:107], s[52:53], v[92:93]
	v_fma_f64 v[149:150], v[106:107], s[48:49], v[94:95]
	v_add_f64 v[36:37], v[36:37], v[86:87]
	v_fma_f64 v[94:95], v[106:107], s[22:23], v[94:95]
	v_fma_f64 v[151:152], v[106:107], s[46:47], v[110:111]
	;; [unrolled: 1-line block ×4, first 2 shown]
	v_mul_f64 v[131:132], v[108:109], s[36:37]
	v_mul_f64 v[133:134], v[108:109], s[20:21]
	;; [unrolled: 1-line block ×3, first 2 shown]
	v_add_f64 v[36:37], v[36:37], v[30:31]
	v_mul_f64 v[108:109], v[108:109], s[34:35]
	v_mul_f64 v[137:138], v[104:105], s[18:19]
	;; [unrolled: 1-line block ×4, first 2 shown]
	v_fma_f64 v[92:93], v[106:107], s[24:25], v[92:93]
	v_fma_f64 v[114:115], v[106:107], s[2:3], v[114:115]
	;; [unrolled: 1-line block ×3, first 2 shown]
	v_add_f64 v[36:37], v[36:37], v[98:99]
	v_fma_f64 v[116:117], v[106:107], s[6:7], v[116:117]
	v_fma_f64 v[157:158], v[106:107], s[56:57], v[121:122]
	;; [unrolled: 1-line block ×7, first 2 shown]
	v_add_f64 v[36:37], v[36:37], v[56:57]
	v_fma_f64 v[106:107], v[102:103], s[48:49], v[88:89]
	v_fma_f64 v[163:164], v[102:103], s[54:55], v[125:126]
	;; [unrolled: 1-line block ×6, first 2 shown]
	v_add_f64 v[147:148], v[100:101], v[147:148]
	v_add_f64 v[36:37], v[36:37], v[24:25]
	;; [unrolled: 1-line block ×6, first 2 shown]
	v_mul_f64 v[145:146], v[104:105], s[26:27]
	v_fma_f64 v[88:89], v[102:103], s[22:23], v[88:89]
	v_fma_f64 v[129:130], v[102:103], s[38:39], v[129:130]
	v_add_f64 v[36:37], v[36:37], v[26:27]
	v_fma_f64 v[169:170], v[102:103], s[30:31], v[131:132]
	v_fma_f64 v[131:132], v[102:103], s[50:51], v[131:132]
	;; [unrolled: 1-line block ×7, first 2 shown]
	v_add_f64 v[36:37], v[36:37], v[34:35]
	v_fma_f64 v[102:103], v[102:103], s[52:53], v[108:109]
	v_fma_f64 v[108:109], v[90:91], s[46:47], v[137:138]
	;; [unrolled: 1-line block ×5, first 2 shown]
	v_add_f64 v[92:93], v[100:101], v[92:93]
	v_add_f64 v[149:150], v[100:101], v[149:150]
	;; [unrolled: 1-line block ×22, first 2 shown]
	v_fma_f64 v[108:109], v[90:91], s[48:49], v[145:146]
	v_add_f64 v[102:103], v[179:180], v[106:107]
	v_mul_f64 v[106:107], v[104:105], s[34:35]
	v_add_f64 v[70:71], v[86:87], v[70:71]
	v_add_f64 v[36:37], v[36:37], v[72:73]
	v_mul_f64 v[139:140], v[104:105], s[28:29]
	v_fma_f64 v[137:138], v[90:91], s[4:5], v[137:138]
	v_add_f64 v[88:89], v[88:89], v[92:93]
	v_add_f64 v[127:128], v[171:172], v[157:158]
	;; [unrolled: 1-line block ×4, first 2 shown]
	v_mul_f64 v[86:87], v[104:105], s[36:37]
	v_add_f64 v[36:37], v[36:37], v[74:75]
	v_add_f64 v[108:109], v[108:109], v[116:117]
	v_mul_f64 v[83:84], v[70:71], s[10:11]
	v_fma_f64 v[177:178], v[90:91], s[56:57], v[139:140]
	v_fma_f64 v[139:140], v[90:91], s[16:17], v[139:140]
	;; [unrolled: 1-line block ×4, first 2 shown]
	v_add_f64 v[92:93], v[163:164], v[149:150]
	v_add_f64 v[36:37], v[36:37], v[76:77]
	;; [unrolled: 1-line block ×4, first 2 shown]
	v_mul_f64 v[125:126], v[104:105], s[10:11]
	v_fma_f64 v[104:105], v[90:91], s[52:53], v[106:107]
	v_fma_f64 v[106:107], v[90:91], s[24:25], v[106:107]
	v_add_f64 v[72:73], v[129:130], v[114:115]
	v_add_f64 v[129:130], v[173:174], v[159:160]
	;; [unrolled: 1-line block ×3, first 2 shown]
	v_fma_f64 v[131:132], v[90:91], s[50:51], v[86:87]
	v_fma_f64 v[85:86], v[90:91], s[30:31], v[86:87]
	;; [unrolled: 1-line block ×4, first 2 shown]
	v_add_f64 v[104:105], v[104:105], v[127:128]
	v_add_f64 v[90:91], v[106:107], v[121:122]
	v_mul_f64 v[106:107], v[70:71], s[40:41]
	v_mul_f64 v[127:128], v[70:71], s[34:35]
	v_add_f64 v[114:115], v[169:170], v[155:156]
	v_add_f64 v[92:93], v[177:178], v[92:93]
	;; [unrolled: 1-line block ×4, first 2 shown]
	v_fma_f64 v[123:124], v[68:69], s[54:55], v[83:84]
	v_mul_f64 v[125:126], v[70:71], s[20:21]
	v_fma_f64 v[83:84], v[68:69], s[2:3], v[83:84]
	v_add_f64 v[116:117], v[116:117], v[129:130]
	v_add_f64 v[38:39], v[85:86], v[38:39]
	v_fma_f64 v[85:86], v[68:69], s[44:45], v[106:107]
	v_fma_f64 v[106:107], v[68:69], s[38:39], v[106:107]
	v_add_f64 v[72:73], v[143:144], v[72:73]
	v_add_f64 v[100:101], v[123:124], v[100:101]
	v_mul_f64 v[123:124], v[70:71], s[18:19]
	v_fma_f64 v[129:130], v[68:69], s[6:7], v[125:126]
	v_fma_f64 v[125:126], v[68:69], s[42:43], v[125:126]
	v_add_f64 v[83:84], v[83:84], v[88:89]
	v_fma_f64 v[87:88], v[68:69], s[24:25], v[127:128]
	v_add_f64 v[114:115], v[183:184], v[114:115]
	v_add_f64 v[85:86], v[85:86], v[92:93]
	;; [unrolled: 1-line block ×3, first 2 shown]
	v_fma_f64 v[94:95], v[68:69], s[52:53], v[127:128]
	v_fma_f64 v[106:107], v[68:69], s[46:47], v[123:124]
	v_add_f64 v[76:77], v[125:126], v[76:77]
	v_mul_f64 v[125:126], v[70:71], s[36:37]
	v_fma_f64 v[123:124], v[68:69], s[4:5], v[123:124]
	v_add_f64 v[87:88], v[87:88], v[110:111]
	v_mul_f64 v[110:111], v[70:71], s[28:29]
	v_add_f64 v[30:31], v[30:31], v[66:67]
	v_add_f64 v[72:73], v[94:95], v[72:73]
	;; [unrolled: 1-line block ×3, first 2 shown]
	v_mul_f64 v[66:67], v[70:71], s[26:27]
	v_fma_f64 v[70:71], v[68:69], s[50:51], v[125:126]
	v_add_f64 v[106:107], v[123:124], v[108:109]
	v_fma_f64 v[108:109], v[68:69], s[30:31], v[125:126]
	v_fma_f64 v[114:115], v[68:69], s[16:17], v[110:111]
	;; [unrolled: 1-line block ×3, first 2 shown]
	v_add_f64 v[20:21], v[20:21], -v[64:65]
	v_mul_f64 v[64:65], v[30:31], s[20:21]
	v_fma_f64 v[123:124], v[68:69], s[22:23], v[66:67]
	v_add_f64 v[70:71], v[70:71], v[104:105]
	v_fma_f64 v[66:67], v[68:69], s[48:49], v[66:67]
	v_add_f64 v[68:69], v[108:109], v[90:91]
	v_mul_f64 v[89:90], v[30:31], s[36:37]
	v_add_f64 v[104:105], v[114:115], v[116:117]
	v_add_f64 v[108:109], v[110:111], v[121:122]
	v_fma_f64 v[110:111], v[20:21], s[42:43], v[64:65]
	v_mul_f64 v[114:115], v[30:31], s[26:27]
	v_fma_f64 v[64:65], v[20:21], s[6:7], v[64:65]
	v_mul_f64 v[116:117], v[30:31], s[18:19]
	v_add_f64 v[38:39], v[66:67], v[38:39]
	v_fma_f64 v[66:67], v[20:21], s[30:31], v[89:90]
	v_fma_f64 v[89:90], v[20:21], s[50:51], v[89:90]
	v_add_f64 v[60:61], v[98:99], v[60:61]
	v_add_f64 v[100:101], v[110:111], v[100:101]
	v_mul_f64 v[110:111], v[30:31], s[40:41]
	v_fma_f64 v[121:122], v[20:21], s[22:23], v[114:115]
	v_fma_f64 v[114:115], v[20:21], s[48:49], v[114:115]
	v_add_f64 v[64:65], v[64:65], v[83:84]
	v_fma_f64 v[83:84], v[20:21], s[46:47], v[116:117]
	v_add_f64 v[66:67], v[66:67], v[85:86]
	v_add_f64 v[85:86], v[89:90], v[92:93]
	v_fma_f64 v[89:90], v[20:21], s[4:5], v[116:117]
	v_fma_f64 v[91:92], v[20:21], s[44:45], v[110:111]
	;; [unrolled: 1-line block ×3, first 2 shown]
	v_add_f64 v[76:77], v[114:115], v[76:77]
	v_mul_f64 v[114:115], v[30:31], s[10:11]
	v_add_f64 v[83:84], v[83:84], v[87:88]
	v_mul_f64 v[87:88], v[30:31], s[34:35]
	v_mul_f64 v[30:31], v[30:31], s[28:29]
	v_add_f64 v[72:73], v[89:90], v[72:73]
	v_add_f64 v[89:90], v[91:92], v[94:95]
	;; [unrolled: 1-line block ×3, first 2 shown]
	v_add_f64 v[58:59], v[96:97], -v[58:59]
	v_fma_f64 v[91:92], v[20:21], s[2:3], v[114:115]
	v_fma_f64 v[98:99], v[20:21], s[54:55], v[114:115]
	;; [unrolled: 1-line block ×4, first 2 shown]
	v_mul_f64 v[95:96], v[60:61], s[28:29]
	v_fma_f64 v[110:111], v[20:21], s[56:57], v[30:31]
	v_fma_f64 v[20:21], v[20:21], s[16:17], v[30:31]
	v_add_f64 v[102:103], v[129:130], v[102:103]
	v_add_f64 v[70:71], v[91:92], v[70:71]
	;; [unrolled: 1-line block ×4, first 2 shown]
	v_mul_f64 v[91:92], v[60:61], s[20:21]
	v_fma_f64 v[97:98], v[58:59], s[56:57], v[95:96]
	v_mul_f64 v[104:105], v[60:61], s[34:35]
	v_add_f64 v[20:21], v[20:21], v[38:39]
	v_fma_f64 v[38:39], v[58:59], s[16:17], v[95:96]
	v_mul_f64 v[95:96], v[60:61], s[36:37]
	v_add_f64 v[102:103], v[121:122], v[102:103]
	v_add_f64 v[87:88], v[87:88], v[108:109]
	v_fma_f64 v[106:107], v[58:59], s[6:7], v[91:92]
	v_fma_f64 v[91:92], v[58:59], s[42:43], v[91:92]
	v_add_f64 v[97:98], v[97:98], v[100:101]
	v_mul_f64 v[99:100], v[60:61], s[10:11]
	v_fma_f64 v[108:109], v[58:59], s[52:53], v[104:105]
	v_fma_f64 v[104:105], v[58:59], s[24:25], v[104:105]
	v_add_f64 v[38:39], v[38:39], v[64:65]
	v_fma_f64 v[64:65], v[58:59], s[50:51], v[95:96]
	v_add_f64 v[33:34], v[56:57], v[34:35]
	v_add_f64 v[85:86], v[91:92], v[85:86]
	v_fma_f64 v[91:92], v[58:59], s[30:31], v[95:96]
	v_fma_f64 v[95:96], v[58:59], s[2:3], v[99:100]
	v_add_f64 v[101:102], v[108:109], v[102:103]
	v_add_f64 v[76:77], v[104:105], v[76:77]
	v_mul_f64 v[103:104], v[60:61], s[26:27]
	v_add_f64 v[64:65], v[64:65], v[83:84]
	v_fma_f64 v[83:84], v[58:59], s[54:55], v[99:100]
	v_mul_f64 v[99:100], v[60:61], s[40:41]
	v_mul_f64 v[56:57], v[60:61], s[18:19]
	v_add_f64 v[72:73], v[91:92], v[72:73]
	v_add_f64 v[89:90], v[95:96], v[89:90]
	v_add_f64 v[54:55], v[78:79], -v[54:55]
	v_fma_f64 v[60:61], v[58:59], s[48:49], v[103:104]
	v_fma_f64 v[91:92], v[58:59], s[22:23], v[103:104]
	v_add_f64 v[83:84], v[83:84], v[93:94]
	v_fma_f64 v[93:94], v[58:59], s[44:45], v[99:100]
	v_fma_f64 v[95:96], v[58:59], s[38:39], v[99:100]
	v_mul_f64 v[78:79], v[33:34], s[36:37]
	v_fma_f64 v[99:100], v[58:59], s[4:5], v[56:57]
	v_fma_f64 v[56:57], v[58:59], s[46:47], v[56:57]
	v_add_f64 v[74:75], v[175:176], v[161:162]
	v_add_f64 v[60:61], v[60:61], v[70:71]
	;; [unrolled: 1-line block ×4, first 2 shown]
	v_mul_f64 v[68:69], v[33:34], s[18:19]
	v_add_f64 v[70:71], v[95:96], v[87:88]
	v_fma_f64 v[87:88], v[54:55], s[50:51], v[78:79]
	v_mul_f64 v[91:92], v[33:34], s[10:11]
	v_fma_f64 v[78:79], v[54:55], s[30:31], v[78:79]
	v_add_f64 v[20:21], v[56:57], v[20:21]
	v_mul_f64 v[56:57], v[33:34], s[28:29]
	v_add_f64 v[74:75], v[131:132], v[74:75]
	v_add_f64 v[66:67], v[106:107], v[66:67]
	v_fma_f64 v[93:94], v[54:55], s[4:5], v[68:69]
	v_add_f64 v[87:88], v[87:88], v[97:98]
	v_fma_f64 v[97:98], v[54:55], s[54:55], v[91:92]
	v_mul_f64 v[95:96], v[33:34], s[34:35]
	v_add_f64 v[38:39], v[78:79], v[38:39]
	v_fma_f64 v[78:79], v[54:55], s[2:3], v[91:92]
	v_fma_f64 v[91:92], v[54:55], s[16:17], v[56:57]
	v_add_f64 v[74:75], v[123:124], v[74:75]
	v_fma_f64 v[68:69], v[54:55], s[46:47], v[68:69]
	v_add_f64 v[66:67], v[93:94], v[66:67]
	;; [unrolled: 2-line block ×3, first 2 shown]
	v_mul_f64 v[97:98], v[33:34], s[40:41]
	v_add_f64 v[76:77], v[78:79], v[76:77]
	v_add_f64 v[64:65], v[91:92], v[64:65]
	v_fma_f64 v[78:79], v[54:55], s[24:25], v[95:96]
	v_mul_f64 v[91:92], v[33:34], s[26:27]
	v_add_f64 v[24:25], v[24:25], v[26:27]
	v_add_f64 v[74:75], v[110:111], v[74:75]
	v_add_f64 v[68:69], v[68:69], v[85:86]
	v_fma_f64 v[85:86], v[54:55], s[52:53], v[95:96]
	v_add_f64 v[72:73], v[56:57], v[72:73]
	v_fma_f64 v[26:27], v[54:55], s[44:45], v[97:98]
	v_fma_f64 v[56:57], v[54:55], s[38:39], v[97:98]
	v_mul_f64 v[33:34], v[33:34], s[20:21]
	v_add_f64 v[78:79], v[78:79], v[83:84]
	v_fma_f64 v[83:84], v[54:55], s[22:23], v[91:92]
	v_add_f64 v[22:23], v[22:23], -v[28:29]
	v_mul_f64 v[28:29], v[24:25], s[40:41]
	v_add_f64 v[74:75], v[99:100], v[74:75]
	v_add_f64 v[85:86], v[85:86], v[89:90]
	v_fma_f64 v[89:90], v[54:55], s[48:49], v[91:92]
	v_add_f64 v[26:27], v[26:27], v[60:61]
	v_add_f64 v[30:31], v[56:57], v[30:31]
	v_fma_f64 v[56:57], v[54:55], s[42:43], v[33:34]
	v_mul_f64 v[60:61], v[24:25], s[34:35]
	v_add_f64 v[83:84], v[83:84], v[58:59]
	v_fma_f64 v[33:34], v[54:55], s[6:7], v[33:34]
	v_fma_f64 v[54:55], v[22:23], s[44:45], v[28:29]
	v_mul_f64 v[58:59], v[24:25], s[36:37]
	v_fma_f64 v[28:29], v[22:23], s[38:39], v[28:29]
	v_add_f64 v[70:71], v[89:90], v[70:71]
	v_add_f64 v[74:75], v[56:57], v[74:75]
	v_fma_f64 v[56:57], v[22:23], s[24:25], v[60:61]
	v_mul_f64 v[89:90], v[24:25], s[26:27]
	v_fma_f64 v[60:61], v[22:23], s[52:53], v[60:61]
	v_add_f64 v[20:21], v[33:34], v[20:21]
	v_add_f64 v[33:34], v[54:55], v[87:88]
	;; [unrolled: 1-line block ×3, first 2 shown]
	v_fma_f64 v[28:29], v[22:23], s[30:31], v[58:59]
	v_fma_f64 v[87:88], v[22:23], s[50:51], v[58:59]
	v_add_f64 v[38:39], v[56:57], v[66:67]
	v_fma_f64 v[58:59], v[22:23], s[22:23], v[89:90]
	v_add_f64 v[56:57], v[60:61], v[68:69]
	v_mul_f64 v[68:69], v[24:25], s[28:29]
	v_fma_f64 v[66:67], v[22:23], s[48:49], v[89:90]
	v_mul_f64 v[89:90], v[24:25], s[18:19]
	v_add_f64 v[60:61], v[28:29], v[76:77]
	v_mul_f64 v[28:29], v[24:25], s[20:21]
	v_mul_f64 v[24:25], v[24:25], s[10:11]
	v_add_f64 v[76:77], v[58:59], v[64:65]
	v_add_f64 v[87:88], v[87:88], v[93:94]
	v_fma_f64 v[58:59], v[22:23], s[56:57], v[68:69]
	v_add_f64 v[64:65], v[66:67], v[72:73]
	v_fma_f64 v[66:67], v[22:23], s[16:17], v[68:69]
	v_fma_f64 v[68:69], v[22:23], s[4:5], v[89:90]
	;; [unrolled: 1-line block ×7, first 2 shown]
	v_add_f64 v[24:25], v[58:59], v[85:86]
	v_add_f64 v[58:59], v[66:67], v[78:79]
	;; [unrolled: 1-line block ×8, first 2 shown]
	s_waitcnt lgkmcnt(0)
	s_barrier
	ds_write2_b64 v32, v[36:37], v[33:34] offset1:17
	ds_write2_b64 v32, v[38:39], v[87:88] offset0:34 offset1:51
	ds_write2_b64 v32, v[76:77], v[24:25] offset0:68 offset1:85
	ds_write2_b64 v32, v[26:27], v[66:67] offset0:102 offset1:119
	ds_write2_b64 v32, v[68:69], v[20:21] offset0:136 offset1:153
	ds_write2_b64 v32, v[28:29], v[30:31] offset0:170 offset1:187
	ds_write2_b64 v32, v[58:59], v[64:65] offset0:204 offset1:221
	ds_write2_b64 v32, v[60:61], v[56:57] offset0:238 offset1:255
	ds_write_b64 v32, v[54:55] offset:2176
	v_add_u32_e32 v20, 0x800, v82
	v_add_u32_e32 v24, 0x1000, v82
	;; [unrolled: 1-line block ×5, first 2 shown]
	s_waitcnt lgkmcnt(0)
	s_barrier
	ds_read2_b64 v[20:23], v20 offset0:33 offset1:135
	ds_read2_b64 v[24:27], v24 offset0:66 offset1:168
	;; [unrolled: 1-line block ×5, first 2 shown]
	ds_read_b64 v[70:71], v82
	ds_read_b64 v[72:73], v113
                                        ; implicit-def: $vgpr66_vgpr67
	s_and_saveexec_b64 s[2:3], s[0:1]
	s_cbranch_execz .LBB0_17
; %bb.16:
	ds_read_b64 v[58:59], v112
	ds_read_b64 v[64:65], v82 offset:3944
	ds_read_b64 v[60:61], v82 offset:6256
	;; [unrolled: 1-line block ×5, first 2 shown]
.LBB0_17:
	s_or_b64 exec, exec, s[2:3]
	s_and_saveexec_b64 s[2:3], vcc
	s_cbranch_execz .LBB0_20
; %bb.18:
	v_mul_i32_i24_e32 v68, 5, v120
	v_mov_b32_e32 v69, 0
	v_lshlrev_b64 v[74:75], 4, v[68:69]
	v_mov_b32_e32 v68, s9
	v_add_co_u32_e32 v102, vcc, s8, v74
	v_mul_u32_u24_e32 v74, 5, v118
	v_lshlrev_b32_e32 v74, 4, v74
	v_add_co_u32_e64 v74, s[2:3], s8, v74
	v_addc_co_u32_e32 v106, vcc, v68, v75, vcc
	s_movk_i32 s4, 0x1100
	v_addc_co_u32_e64 v68, s[2:3], 0, v68, s[2:3]
	v_add_co_u32_e64 v120, s[2:3], s4, v74
	v_add_co_u32_e32 v78, vcc, 0x1100, v102
	s_movk_i32 s6, 0x1000
	v_addc_co_u32_e64 v121, s[2:3], 0, v68, s[2:3]
	v_add_co_u32_e64 v94, s[2:3], s6, v74
	v_addc_co_u32_e32 v79, vcc, 0, v106, vcc
	v_addc_co_u32_e64 v95, s[2:3], 0, v68, s[2:3]
	v_add_co_u32_e32 v122, vcc, 0x1000, v102
	global_load_dwordx4 v[74:77], v[120:121], off offset:48
	global_load_dwordx4 v[82:85], v[120:121], off offset:32
	;; [unrolled: 1-line block ×4, first 2 shown]
	s_nop 0
	global_load_dwordx4 v[94:97], v[78:79], off offset:32
	global_load_dwordx4 v[98:101], v[78:79], off offset:16
	v_addc_co_u32_e32 v123, vcc, 0, v106, vcc
	global_load_dwordx4 v[102:105], v[78:79], off offset:48
	global_load_dwordx4 v[106:109], v[122:123], off offset:320
	;; [unrolled: 1-line block ×4, first 2 shown]
	s_mov_b32 s4, 0xe8584caa
	s_mov_b32 s5, 0xbfebb67a
	;; [unrolled: 1-line block ×4, first 2 shown]
	v_add_u32_e32 v68, 0x121, v118
	s_waitcnt vmcnt(9)
	v_mul_f64 v[78:79], v[8:9], v[76:77]
	s_waitcnt lgkmcnt(3)
	v_mul_f64 v[76:77], v[32:33], v[76:77]
	s_waitcnt vmcnt(8)
	v_mul_f64 v[120:121], v[12:13], v[84:85]
	s_waitcnt vmcnt(7)
	v_mul_f64 v[124:125], v[16:17], v[86:87]
	v_mul_f64 v[84:85], v[28:29], v[84:85]
	v_mul_f64 v[16:17], v[16:17], v[88:89]
	s_waitcnt vmcnt(5)
	v_mul_f64 v[128:129], v[14:15], v[96:97]
	s_waitcnt vmcnt(2)
	v_mul_f64 v[132:133], v[6:7], v[108:109]
	v_mul_f64 v[122:123], v[4:5], v[92:93]
	s_waitcnt lgkmcnt(2)
	v_mul_f64 v[92:93], v[36:37], v[92:93]
	v_mul_f64 v[126:127], v[2:3], v[100:101]
	;; [unrolled: 1-line block ×3, first 2 shown]
	s_waitcnt vmcnt(1)
	v_mul_f64 v[134:135], v[18:19], v[110:111]
	v_mul_f64 v[108:109], v[38:39], v[108:109]
	;; [unrolled: 1-line block ×3, first 2 shown]
	v_fma_f64 v[32:33], v[32:33], v[74:75], -v[78:79]
	v_fma_f64 v[74:75], v[8:9], v[74:75], v[76:77]
	v_fma_f64 v[78:79], v[12:13], v[82:83], v[84:85]
	v_fma_f64 v[84:85], v[20:21], v[86:87], -v[16:17]
	v_fma_f64 v[8:9], v[30:31], v[94:95], -v[128:129]
	;; [unrolled: 1-line block ×3, first 2 shown]
	v_mul_f64 v[100:101], v[26:27], v[100:101]
	v_mul_f64 v[130:131], v[10:11], v[104:105]
	;; [unrolled: 1-line block ×3, first 2 shown]
	v_fma_f64 v[28:29], v[28:29], v[82:83], -v[120:121]
	v_fma_f64 v[82:83], v[4:5], v[90:91], v[92:93]
	v_fma_f64 v[4:5], v[26:27], v[98:99], -v[126:127]
	v_fma_f64 v[12:13], v[14:15], v[94:95], v[96:97]
	v_fma_f64 v[6:7], v[6:7], v[106:107], v[108:109]
	v_fma_f64 v[18:19], v[22:23], v[110:111], -v[18:19]
	v_add_f64 v[96:97], v[8:9], v[16:17]
	s_waitcnt vmcnt(0)
	v_mul_f64 v[136:137], v[0:1], v[116:117]
	v_fma_f64 v[36:37], v[36:37], v[90:91], -v[122:123]
	v_fma_f64 v[76:77], v[20:21], v[88:89], v[124:125]
	v_fma_f64 v[2:3], v[2:3], v[98:99], v[100:101]
	v_fma_f64 v[14:15], v[34:35], v[102:103], -v[130:131]
	v_fma_f64 v[10:11], v[10:11], v[102:103], v[104:105]
	v_fma_f64 v[20:21], v[22:23], v[112:113], v[134:135]
	s_waitcnt lgkmcnt(0)
	v_add_f64 v[38:39], v[72:73], v[4:5]
	v_add_f64 v[92:93], v[8:9], -v[16:17]
	v_add_f64 v[94:95], v[12:13], v[6:7]
	v_add_f64 v[98:99], v[12:13], -v[6:7]
	v_add_f64 v[8:9], v[8:9], v[18:19]
	v_fma_f64 v[18:19], v[96:97], -0.5, v[18:19]
	v_mul_f64 v[116:117], v[24:25], v[116:117]
	v_fma_f64 v[22:23], v[24:25], v[114:115], -v[136:137]
	v_add_f64 v[24:25], v[78:79], v[82:83]
	v_add_f64 v[30:31], v[28:29], v[36:37]
	;; [unrolled: 1-line block ×4, first 2 shown]
	v_add_f64 v[90:91], v[2:3], -v[10:11]
	v_add_f64 v[4:5], v[4:5], -v[14:15]
	v_add_f64 v[2:3], v[2:3], v[10:11]
	v_add_f64 v[12:13], v[12:13], v[20:21]
	;; [unrolled: 1-line block ×3, first 2 shown]
	v_fma_f64 v[20:21], v[94:95], -0.5, v[20:21]
	v_add_f64 v[38:39], v[16:17], v[8:9]
	v_fma_f64 v[8:9], v[98:99], s[4:5], v[18:19]
	v_fma_f64 v[16:17], v[98:99], s[2:3], v[18:19]
	v_fma_f64 v[104:105], v[24:25], -0.5, v[76:77]
	v_fma_f64 v[24:25], v[30:31], -0.5, v[84:85]
	v_add_f64 v[30:31], v[86:87], v[10:11]
	v_fma_f64 v[10:11], v[88:89], -0.5, v[72:73]
	v_fma_f64 v[2:3], v[2:3], -0.5, v[62:63]
	v_add_f64 v[62:63], v[6:7], v[12:13]
	v_fma_f64 v[6:7], v[92:93], s[2:3], v[20:21]
	v_fma_f64 v[12:13], v[92:93], s[4:5], v[20:21]
	v_mul_f64 v[20:21], v[8:9], -0.5
	v_mul_f64 v[88:89], v[16:17], 0.5
	v_add_f64 v[34:35], v[78:79], -v[82:83]
	v_fma_f64 v[0:1], v[0:1], v[114:115], v[116:117]
	v_add_f64 v[100:101], v[22:23], v[32:33]
	v_mul_f64 v[8:9], v[8:9], s[4:5]
	v_mul_f64 v[16:17], v[16:17], s[4:5]
	v_fma_f64 v[92:93], v[90:91], s[4:5], v[10:11]
	v_fma_f64 v[90:91], v[90:91], s[2:3], v[10:11]
	;; [unrolled: 1-line block ×4, first 2 shown]
	v_add_f64 v[26:27], v[28:29], -v[36:37]
	v_fma_f64 v[86:87], v[34:35], s[4:5], v[24:25]
	v_add_f64 v[102:103], v[0:1], -v[74:75]
	v_fma_f64 v[18:19], v[100:101], -0.5, v[70:71]
	v_fma_f64 v[94:95], v[4:5], s[2:3], v[2:3]
	v_fma_f64 v[98:99], v[6:7], -0.5, v[8:9]
	v_fma_f64 v[100:101], v[12:13], 0.5, v[16:17]
	v_fma_f64 v[34:35], v[34:35], s[2:3], v[24:25]
	v_add_f64 v[8:9], v[92:93], -v[20:21]
	v_add_f64 v[12:13], v[90:91], -v[88:89]
	v_add_f64 v[16:17], v[92:93], v[20:21]
	v_add_f64 v[20:21], v[90:91], v[88:89]
	;; [unrolled: 1-line block ×3, first 2 shown]
	v_fma_f64 v[72:73], v[26:27], s[2:3], v[104:105]
	v_mul_f64 v[106:107], v[86:87], -0.5
	v_fma_f64 v[96:97], v[4:5], s[4:5], v[2:3]
	v_add_f64 v[4:5], v[14:15], -v[38:39]
	v_add_f64 v[6:7], v[94:95], -v[98:99]
	v_add_f64 v[24:25], v[14:15], v[38:39]
	v_add_f64 v[14:15], v[94:95], v[98:99]
	v_fma_f64 v[38:39], v[102:103], s[4:5], v[18:19]
	v_fma_f64 v[26:27], v[26:27], s[4:5], v[104:105]
	v_mul_f64 v[90:91], v[34:35], 0.5
	v_fma_f64 v[94:95], v[102:103], s[2:3], v[18:19]
	v_add_f64 v[18:19], v[70:71], v[22:23]
	v_add_f64 v[22:23], v[22:23], -v[32:33]
	v_fma_f64 v[70:71], v[88:89], -0.5, v[52:53]
	v_add_f64 v[28:29], v[28:29], v[84:85]
	v_add_f64 v[0:1], v[52:53], v[0:1]
	;; [unrolled: 1-line block ×3, first 2 shown]
	v_fma_f64 v[92:93], v[72:73], s[2:3], v[106:107]
	v_mul_f64 v[84:85], v[86:87], s[4:5]
	v_add_f64 v[2:3], v[30:31], -v[62:63]
	v_fma_f64 v[86:87], v[26:27], s[2:3], v[90:91]
	v_fma_f64 v[90:91], v[22:23], s[2:3], v[70:71]
	v_fma_f64 v[102:103], v[22:23], s[4:5], v[70:71]
	v_add_f64 v[22:23], v[30:31], v[62:63]
	v_mad_u64_u32 v[62:63], s[10:11], s12, v118, 0
	v_add_f64 v[78:79], v[18:19], v[32:33]
	v_add_f64 v[88:89], v[36:37], v[28:29]
	;; [unrolled: 1-line block ×4, first 2 shown]
	v_mul_f64 v[34:35], v[34:35], s[4:5]
	v_fma_f64 v[98:99], v[72:73], -0.5, v[84:85]
	v_add_f64 v[28:29], v[38:39], -v[92:93]
	v_add_f64 v[72:73], v[38:39], v[92:93]
	v_mov_b32_e32 v38, v63
	v_mad_u64_u32 v[38:39], s[10:11], s13, v118, v[38:39]
	v_add_f64 v[84:85], v[78:79], v[88:89]
	v_add_f64 v[82:83], v[0:1], v[52:53]
	v_mov_b32_e32 v63, v38
	v_mad_u64_u32 v[38:39], s[10:11], s12, v68, 0
	v_fma_f64 v[104:105], v[26:27], 0.5, v[34:35]
	v_add_f64 v[34:35], v[0:1], -v[52:53]
	v_lshlrev_b64 v[52:53], 4, v[62:63]
	v_mad_u64_u32 v[62:63], s[10:11], s13, v68, v[39:40]
	v_mov_b32_e32 v1, s15
	v_add_co_u32_e32 v0, vcc, s14, v80
	v_addc_co_u32_e32 v1, vcc, v1, v81, vcc
	v_add_co_u32_e32 v52, vcc, v0, v52
	v_addc_co_u32_e32 v53, vcc, v1, v53, vcc
	v_mov_b32_e32 v39, v62
	v_add_u32_e32 v62, 0x242, v118
	global_store_dwordx4 v[52:53], v[82:85], off
	v_mad_u64_u32 v[52:53], s[10:11], s12, v62, 0
	v_add_f64 v[76:77], v[94:95], v[86:87]
	v_add_f64 v[74:75], v[102:103], v[104:105]
	v_mad_u64_u32 v[62:63], s[10:11], s13, v62, v[53:54]
	v_add_u32_e32 v63, 0x363, v118
	v_add_f64 v[36:37], v[78:79], -v[88:89]
	v_lshlrev_b64 v[38:39], 4, v[38:39]
	v_mad_u64_u32 v[78:79], s[10:11], s12, v63, 0
	v_add_co_u32_e32 v38, vcc, v0, v38
	v_addc_co_u32_e32 v39, vcc, v1, v39, vcc
	v_mov_b32_e32 v53, v62
	global_store_dwordx4 v[38:39], v[74:77], off
	v_lshlrev_b64 v[38:39], 4, v[52:53]
	v_mov_b32_e32 v52, v79
	v_mad_u64_u32 v[52:53], s[10:11], s13, v63, v[52:53]
	v_add_f64 v[70:71], v[90:91], v[98:99]
	v_add_u32_e32 v62, 0x484, v118
	v_mov_b32_e32 v79, v52
	v_mad_u64_u32 v[52:53], s[10:11], s12, v62, 0
	v_add_co_u32_e32 v38, vcc, v0, v38
	v_addc_co_u32_e32 v39, vcc, v1, v39, vcc
	v_mad_u64_u32 v[62:63], s[10:11], s13, v62, v[53:54]
	v_add_f64 v[32:33], v[94:95], -v[86:87]
	v_add_f64 v[30:31], v[102:103], -v[104:105]
	global_store_dwordx4 v[38:39], v[70:73], off
	v_lshlrev_b64 v[38:39], 4, v[78:79]
	v_add_u32_e32 v63, 0x5a5, v118
	v_add_co_u32_e32 v38, vcc, v0, v38
	v_addc_co_u32_e32 v39, vcc, v1, v39, vcc
	v_mad_u64_u32 v[70:71], s[10:11], s12, v63, 0
	v_mov_b32_e32 v53, v62
	global_store_dwordx4 v[38:39], v[34:37], off
	v_add_f64 v[26:27], v[90:91], -v[98:99]
	v_lshlrev_b64 v[34:35], 4, v[52:53]
	v_mov_b32_e32 v36, v71
	v_add_co_u32_e32 v34, vcc, v0, v34
	v_addc_co_u32_e32 v35, vcc, v1, v35, vcc
	v_mad_u64_u32 v[36:37], s[10:11], s13, v63, v[36:37]
	global_store_dwordx4 v[34:35], v[30:33], off
	v_add_u32_e32 v34, 0x66, v118
	v_mad_u64_u32 v[32:33], s[10:11], s12, v34, 0
	v_mov_b32_e32 v71, v36
	v_lshlrev_b64 v[30:31], 4, v[70:71]
	v_mad_u64_u32 v[33:34], s[10:11], s13, v34, v[33:34]
	v_add_co_u32_e32 v30, vcc, v0, v30
	v_add_u32_e32 v36, 0x187, v118
	v_addc_co_u32_e32 v31, vcc, v1, v31, vcc
	v_mad_u64_u32 v[34:35], s[10:11], s12, v36, 0
	global_store_dwordx4 v[30:31], v[26:29], off
	v_add_f64 v[18:19], v[96:97], v[100:101]
	v_lshlrev_b64 v[26:27], 4, v[32:33]
	v_mov_b32_e32 v28, v35
	v_add_co_u32_e32 v26, vcc, v0, v26
	v_addc_co_u32_e32 v27, vcc, v1, v27, vcc
	v_mad_u64_u32 v[28:29], s[10:11], s13, v36, v[28:29]
	global_store_dwordx4 v[26:27], v[22:25], off
	v_add_u32_e32 v26, 0x2a8, v118
	v_mad_u64_u32 v[24:25], s[10:11], s12, v26, 0
	v_mov_b32_e32 v35, v28
	v_lshlrev_b64 v[22:23], 4, v[34:35]
	v_mad_u64_u32 v[25:26], s[10:11], s13, v26, v[25:26]
	v_add_co_u32_e32 v22, vcc, v0, v22
	v_addc_co_u32_e32 v23, vcc, v1, v23, vcc
	v_add_u32_e32 v28, 0x3c9, v118
	v_mad_u64_u32 v[26:27], s[10:11], s12, v28, 0
	global_store_dwordx4 v[22:23], v[18:21], off
	v_add_f64 v[10:11], v[96:97], -v[100:101]
	v_lshlrev_b64 v[18:19], 4, v[24:25]
	v_mov_b32_e32 v20, v27
	v_add_co_u32_e32 v18, vcc, v0, v18
	v_addc_co_u32_e32 v19, vcc, v1, v19, vcc
	global_store_dwordx4 v[18:19], v[14:17], off
	v_add_u32_e32 v18, 0x4ea, v118
	v_mad_u64_u32 v[20:21], s[10:11], s13, v28, v[20:21]
	v_mad_u64_u32 v[16:17], s[10:11], s12, v18, 0
	v_mov_b32_e32 v27, v20
	v_add_u32_e32 v20, 0x60b, v118
	v_mad_u64_u32 v[17:18], s[10:11], s13, v18, v[17:18]
	v_lshlrev_b64 v[14:15], 4, v[26:27]
	v_mad_u64_u32 v[18:19], s[10:11], s12, v20, 0
	v_add_co_u32_e32 v14, vcc, v0, v14
	v_addc_co_u32_e32 v15, vcc, v1, v15, vcc
	global_store_dwordx4 v[14:15], v[2:5], off
	s_nop 0
	v_mov_b32_e32 v4, v19
	v_mad_u64_u32 v[4:5], s[10:11], s13, v20, v[4:5]
	v_lshlrev_b64 v[2:3], 4, v[16:17]
	v_add_co_u32_e32 v2, vcc, v0, v2
	v_addc_co_u32_e32 v3, vcc, v1, v3, vcc
	v_mov_b32_e32 v19, v4
	global_store_dwordx4 v[2:3], v[10:13], off
	v_lshlrev_b64 v[2:3], 4, v[18:19]
	v_add_co_u32_e32 v2, vcc, v0, v2
	v_addc_co_u32_e32 v3, vcc, v1, v3, vcc
	global_store_dwordx4 v[2:3], v[6:9], off
	s_and_b64 exec, exec, s[0:1]
	s_cbranch_execz .LBB0_20
; %bb.19:
	v_add_u32_e32 v2, 0xffffffab, v118
	v_cndmask_b32_e64 v2, v2, v119, s[0:1]
	v_mul_i32_i24_e32 v68, 5, v2
	v_lshlrev_b64 v[2:3], 4, v[68:69]
	v_mov_b32_e32 v4, s9
	v_add_co_u32_e32 v2, vcc, s8, v2
	v_addc_co_u32_e32 v10, vcc, v4, v3, vcc
	v_add_co_u32_e32 v22, vcc, 0x1100, v2
	v_addc_co_u32_e32 v23, vcc, 0, v10, vcc
	v_add_co_u32_e32 v24, vcc, s6, v2
	global_load_dwordx4 v[2:5], v[22:23], off offset:32
	global_load_dwordx4 v[6:9], v[22:23], off offset:16
	v_addc_co_u32_e32 v25, vcc, 0, v10, vcc
	global_load_dwordx4 v[10:13], v[24:25], off offset:256
	global_load_dwordx4 v[14:17], v[24:25], off offset:320
	;; [unrolled: 1-line block ×3, first 2 shown]
	v_add_u32_e32 v34, 0xcc, v118
	v_add_u32_e32 v36, 0x1ed, v118
	;; [unrolled: 1-line block ×3, first 2 shown]
	v_mad_u64_u32 v[22:23], s[0:1], s12, v34, 0
	v_mad_u64_u32 v[24:25], s[0:1], s12, v36, 0
	v_add_u32_e32 v38, 0x42f, v118
	v_mad_u64_u32 v[26:27], s[0:1], s12, v37, 0
	v_add_u32_e32 v39, 0x550, v118
	v_mad_u64_u32 v[28:29], s[0:1], s12, v38, 0
	v_mad_u64_u32 v[30:31], s[0:1], s12, v39, 0
	;; [unrolled: 1-line block ×6, first 2 shown]
	v_add_u32_e32 v68, 0x671, v118
	v_mad_u64_u32 v[32:33], s[0:1], s12, v68, 0
	v_mov_b32_e32 v23, v34
	v_mov_b32_e32 v25, v35
	;; [unrolled: 1-line block ×4, first 2 shown]
	v_mad_u64_u32 v[38:39], s[0:1], s13, v39, v[31:32]
	v_lshlrev_b64 v[22:23], 4, v[22:23]
	v_lshlrev_b64 v[24:25], 4, v[24:25]
	v_mov_b32_e32 v31, v38
	v_add_co_u32_e32 v22, vcc, v0, v22
	v_addc_co_u32_e32 v23, vcc, v1, v23, vcc
	v_lshlrev_b64 v[26:27], 4, v[26:27]
	v_add_co_u32_e32 v24, vcc, v0, v24
	v_addc_co_u32_e32 v25, vcc, v1, v25, vcc
	v_lshlrev_b64 v[28:29], 4, v[28:29]
	v_add_co_u32_e32 v26, vcc, v0, v26
	v_addc_co_u32_e32 v27, vcc, v1, v27, vcc
	v_add_co_u32_e32 v28, vcc, v0, v28
	v_addc_co_u32_e32 v29, vcc, v1, v29, vcc
	s_waitcnt vmcnt(4)
	v_mul_f64 v[36:37], v[56:57], v[4:5]
	s_waitcnt vmcnt(3)
	v_mul_f64 v[34:35], v[60:61], v[8:9]
	v_mul_f64 v[8:9], v[48:49], v[8:9]
	v_mul_f64 v[4:5], v[44:45], v[4:5]
	s_waitcnt vmcnt(1)
	v_mul_f64 v[52:53], v[50:51], v[16:17]
	v_mul_f64 v[38:39], v[64:65], v[12:13]
	;; [unrolled: 4-line block ×3, first 2 shown]
	v_mul_f64 v[16:17], v[66:67], v[16:17]
	v_fma_f64 v[34:35], v[48:49], v[6:7], v[34:35]
	v_fma_f64 v[6:7], v[60:61], v[6:7], -v[8:9]
	v_fma_f64 v[8:9], v[44:45], v[2:3], v[36:37]
	v_fma_f64 v[2:3], v[56:57], v[2:3], -v[4:5]
	v_fma_f64 v[4:5], v[66:67], v[14:15], -v[52:53]
	v_fma_f64 v[36:37], v[46:47], v[18:19], v[62:63]
	v_fma_f64 v[18:19], v[54:55], v[18:19], -v[20:21]
	v_fma_f64 v[20:21], v[42:43], v[10:11], v[38:39]
	;; [unrolled: 2-line block ×3, first 2 shown]
	v_add_f64 v[14:15], v[40:41], v[34:35]
	v_add_f64 v[16:17], v[58:59], v[6:7]
	;; [unrolled: 1-line block ×4, first 2 shown]
	v_add_f64 v[44:45], v[6:7], -v[18:19]
	v_add_f64 v[46:47], v[20:21], v[8:9]
	v_add_f64 v[6:7], v[6:7], v[18:19]
	;; [unrolled: 1-line block ×3, first 2 shown]
	v_add_f64 v[8:9], v[8:9], -v[12:13]
	v_add_f64 v[50:51], v[2:3], -v[4:5]
	v_fma_f64 v[38:39], v[38:39], -0.5, v[10:11]
	v_add_f64 v[2:3], v[10:11], v[2:3]
	v_add_f64 v[10:11], v[14:15], v[36:37]
	v_fma_f64 v[14:15], v[42:43], -0.5, v[40:41]
	v_add_f64 v[18:19], v[16:17], v[18:19]
	v_fma_f64 v[16:17], v[48:49], -0.5, v[20:21]
	v_add_f64 v[34:35], v[34:35], -v[36:37]
	v_fma_f64 v[6:7], v[6:7], -0.5, v[58:59]
	v_fma_f64 v[20:21], v[8:9], s[2:3], v[38:39]
	v_fma_f64 v[8:9], v[8:9], s[4:5], v[38:39]
	v_add_f64 v[12:13], v[46:47], v[12:13]
	v_fma_f64 v[38:39], v[44:45], s[4:5], v[14:15]
	v_fma_f64 v[40:41], v[44:45], s[2:3], v[14:15]
	;; [unrolled: 1-line block ×4, first 2 shown]
	v_add_f64 v[36:37], v[2:3], v[4:5]
	v_mul_f64 v[42:43], v[20:21], s[4:5]
	v_mul_f64 v[20:21], v[20:21], 0.5
	v_mul_f64 v[44:45], v[8:9], s[4:5]
	v_mul_f64 v[8:9], v[8:9], -0.5
	v_fma_f64 v[46:47], v[34:35], s[2:3], v[6:7]
	v_fma_f64 v[34:35], v[34:35], s[4:5], v[6:7]
	v_add_f64 v[2:3], v[10:11], v[12:13]
	v_add_f64 v[4:5], v[18:19], v[36:37]
	v_fma_f64 v[42:43], v[14:15], 0.5, v[42:43]
	v_fma_f64 v[20:21], v[14:15], s[2:3], v[20:21]
	v_fma_f64 v[44:45], v[16:17], -0.5, v[44:45]
	v_fma_f64 v[48:49], v[16:17], s[2:3], v[8:9]
	v_add_f64 v[6:7], v[10:11], -v[12:13]
	v_add_f64 v[8:9], v[18:19], -v[36:37]
	global_store_dwordx4 v[22:23], v[2:5], off
	v_add_f64 v[10:11], v[38:39], v[42:43]
	v_add_f64 v[12:13], v[46:47], v[20:21]
	;; [unrolled: 1-line block ×4, first 2 shown]
	v_add_f64 v[2:3], v[38:39], -v[42:43]
	v_add_f64 v[4:5], v[46:47], -v[20:21]
	global_store_dwordx4 v[24:25], v[10:13], off
	global_store_dwordx4 v[26:27], v[14:17], off
	;; [unrolled: 1-line block ×3, first 2 shown]
	s_nop 0
	v_mov_b32_e32 v8, v33
	v_mad_u64_u32 v[8:9], s[0:1], s13, v68, v[8:9]
	v_add_f64 v[18:19], v[40:41], -v[44:45]
	v_add_f64 v[20:21], v[34:35], -v[48:49]
	v_lshlrev_b64 v[6:7], 4, v[30:31]
	v_mov_b32_e32 v33, v8
	v_add_co_u32_e32 v6, vcc, v0, v6
	v_addc_co_u32_e32 v7, vcc, v1, v7, vcc
	global_store_dwordx4 v[6:7], v[2:5], off
	s_nop 0
	v_lshlrev_b64 v[2:3], 4, v[32:33]
	v_add_co_u32_e32 v0, vcc, v0, v2
	v_addc_co_u32_e32 v1, vcc, v1, v3, vcc
	global_store_dwordx4 v[0:1], v[18:21], off
.LBB0_20:
	s_endpgm
	.section	.rodata,"a",@progbits
	.p2align	6, 0x0
	.amdhsa_kernel fft_rtc_back_len1734_factors_17_17_6_wgs_102_tpt_102_halfLds_dp_ip_CI_sbrr_dirReg
		.amdhsa_group_segment_fixed_size 0
		.amdhsa_private_segment_fixed_size 0
		.amdhsa_kernarg_size 88
		.amdhsa_user_sgpr_count 6
		.amdhsa_user_sgpr_private_segment_buffer 1
		.amdhsa_user_sgpr_dispatch_ptr 0
		.amdhsa_user_sgpr_queue_ptr 0
		.amdhsa_user_sgpr_kernarg_segment_ptr 1
		.amdhsa_user_sgpr_dispatch_id 0
		.amdhsa_user_sgpr_flat_scratch_init 0
		.amdhsa_user_sgpr_private_segment_size 0
		.amdhsa_uses_dynamic_stack 0
		.amdhsa_system_sgpr_private_segment_wavefront_offset 0
		.amdhsa_system_sgpr_workgroup_id_x 1
		.amdhsa_system_sgpr_workgroup_id_y 0
		.amdhsa_system_sgpr_workgroup_id_z 0
		.amdhsa_system_sgpr_workgroup_info 0
		.amdhsa_system_vgpr_workitem_id 0
		.amdhsa_next_free_vgpr 252
		.amdhsa_next_free_sgpr 60
		.amdhsa_reserve_vcc 1
		.amdhsa_reserve_flat_scratch 0
		.amdhsa_float_round_mode_32 0
		.amdhsa_float_round_mode_16_64 0
		.amdhsa_float_denorm_mode_32 3
		.amdhsa_float_denorm_mode_16_64 3
		.amdhsa_dx10_clamp 1
		.amdhsa_ieee_mode 1
		.amdhsa_fp16_overflow 0
		.amdhsa_exception_fp_ieee_invalid_op 0
		.amdhsa_exception_fp_denorm_src 0
		.amdhsa_exception_fp_ieee_div_zero 0
		.amdhsa_exception_fp_ieee_overflow 0
		.amdhsa_exception_fp_ieee_underflow 0
		.amdhsa_exception_fp_ieee_inexact 0
		.amdhsa_exception_int_div_zero 0
	.end_amdhsa_kernel
	.text
.Lfunc_end0:
	.size	fft_rtc_back_len1734_factors_17_17_6_wgs_102_tpt_102_halfLds_dp_ip_CI_sbrr_dirReg, .Lfunc_end0-fft_rtc_back_len1734_factors_17_17_6_wgs_102_tpt_102_halfLds_dp_ip_CI_sbrr_dirReg
                                        ; -- End function
	.section	.AMDGPU.csdata,"",@progbits
; Kernel info:
; codeLenInByte = 18536
; NumSgprs: 64
; NumVgprs: 252
; ScratchSize: 0
; MemoryBound: 1
; FloatMode: 240
; IeeeMode: 1
; LDSByteSize: 0 bytes/workgroup (compile time only)
; SGPRBlocks: 7
; VGPRBlocks: 62
; NumSGPRsForWavesPerEU: 64
; NumVGPRsForWavesPerEU: 252
; Occupancy: 1
; WaveLimiterHint : 1
; COMPUTE_PGM_RSRC2:SCRATCH_EN: 0
; COMPUTE_PGM_RSRC2:USER_SGPR: 6
; COMPUTE_PGM_RSRC2:TRAP_HANDLER: 0
; COMPUTE_PGM_RSRC2:TGID_X_EN: 1
; COMPUTE_PGM_RSRC2:TGID_Y_EN: 0
; COMPUTE_PGM_RSRC2:TGID_Z_EN: 0
; COMPUTE_PGM_RSRC2:TIDIG_COMP_CNT: 0
	.type	__hip_cuid_741beadbee8a0f6f,@object ; @__hip_cuid_741beadbee8a0f6f
	.section	.bss,"aw",@nobits
	.globl	__hip_cuid_741beadbee8a0f6f
__hip_cuid_741beadbee8a0f6f:
	.byte	0                               ; 0x0
	.size	__hip_cuid_741beadbee8a0f6f, 1

	.ident	"AMD clang version 19.0.0git (https://github.com/RadeonOpenCompute/llvm-project roc-6.4.0 25133 c7fe45cf4b819c5991fe208aaa96edf142730f1d)"
	.section	".note.GNU-stack","",@progbits
	.addrsig
	.addrsig_sym __hip_cuid_741beadbee8a0f6f
	.amdgpu_metadata
---
amdhsa.kernels:
  - .args:
      - .actual_access:  read_only
        .address_space:  global
        .offset:         0
        .size:           8
        .value_kind:     global_buffer
      - .offset:         8
        .size:           8
        .value_kind:     by_value
      - .actual_access:  read_only
        .address_space:  global
        .offset:         16
        .size:           8
        .value_kind:     global_buffer
      - .actual_access:  read_only
        .address_space:  global
        .offset:         24
        .size:           8
        .value_kind:     global_buffer
      - .offset:         32
        .size:           8
        .value_kind:     by_value
      - .actual_access:  read_only
        .address_space:  global
        .offset:         40
        .size:           8
        .value_kind:     global_buffer
      - .actual_access:  read_only
        .address_space:  global
        .offset:         48
        .size:           8
        .value_kind:     global_buffer
      - .offset:         56
        .size:           4
        .value_kind:     by_value
      - .actual_access:  read_only
        .address_space:  global
        .offset:         64
        .size:           8
        .value_kind:     global_buffer
      - .actual_access:  read_only
        .address_space:  global
        .offset:         72
        .size:           8
        .value_kind:     global_buffer
      - .address_space:  global
        .offset:         80
        .size:           8
        .value_kind:     global_buffer
    .group_segment_fixed_size: 0
    .kernarg_segment_align: 8
    .kernarg_segment_size: 88
    .language:       OpenCL C
    .language_version:
      - 2
      - 0
    .max_flat_workgroup_size: 102
    .name:           fft_rtc_back_len1734_factors_17_17_6_wgs_102_tpt_102_halfLds_dp_ip_CI_sbrr_dirReg
    .private_segment_fixed_size: 0
    .sgpr_count:     64
    .sgpr_spill_count: 0
    .symbol:         fft_rtc_back_len1734_factors_17_17_6_wgs_102_tpt_102_halfLds_dp_ip_CI_sbrr_dirReg.kd
    .uniform_work_group_size: 1
    .uses_dynamic_stack: false
    .vgpr_count:     252
    .vgpr_spill_count: 0
    .wavefront_size: 64
amdhsa.target:   amdgcn-amd-amdhsa--gfx906
amdhsa.version:
  - 1
  - 2
...

	.end_amdgpu_metadata
